;; amdgpu-corpus repo=ROCm/rocFFT kind=compiled arch=gfx906 opt=O3
	.text
	.amdgcn_target "amdgcn-amd-amdhsa--gfx906"
	.amdhsa_code_object_version 6
	.protected	fft_rtc_back_len510_factors_17_2_3_5_wgs_238_tpt_34_halfLds_dp_ip_CI_sbrr_dirReg ; -- Begin function fft_rtc_back_len510_factors_17_2_3_5_wgs_238_tpt_34_halfLds_dp_ip_CI_sbrr_dirReg
	.globl	fft_rtc_back_len510_factors_17_2_3_5_wgs_238_tpt_34_halfLds_dp_ip_CI_sbrr_dirReg
	.p2align	8
	.type	fft_rtc_back_len510_factors_17_2_3_5_wgs_238_tpt_34_halfLds_dp_ip_CI_sbrr_dirReg,@function
fft_rtc_back_len510_factors_17_2_3_5_wgs_238_tpt_34_halfLds_dp_ip_CI_sbrr_dirReg: ; @fft_rtc_back_len510_factors_17_2_3_5_wgs_238_tpt_34_halfLds_dp_ip_CI_sbrr_dirReg
; %bb.0:
	s_load_dwordx2 s[2:3], s[4:5], 0x18
	s_load_dwordx4 s[8:11], s[4:5], 0x0
	s_load_dwordx2 s[14:15], s[4:5], 0x50
	v_mul_u32_u24_e32 v1, 0x788, v0
	v_lshrrev_b32_e32 v1, 16, v1
	v_mad_u64_u32 v[72:73], s[0:1], s6, 7, v[1:2]
	s_waitcnt lgkmcnt(0)
	s_load_dwordx2 s[12:13], s[2:3], 0x0
	v_mov_b32_e32 v3, 0
	v_cmp_lt_u64_e64 s[0:1], s[10:11], 2
	v_mov_b32_e32 v73, v3
	v_mov_b32_e32 v1, 0
	;; [unrolled: 1-line block ×3, first 2 shown]
	s_and_b64 vcc, exec, s[0:1]
	v_mov_b32_e32 v2, 0
	v_mov_b32_e32 v8, v73
	s_cbranch_vccnz .LBB0_8
; %bb.1:
	s_load_dwordx2 s[0:1], s[4:5], 0x10
	s_add_u32 s6, s2, 8
	s_addc_u32 s7, s3, 0
	v_mov_b32_e32 v1, 0
	v_mov_b32_e32 v5, v72
	s_waitcnt lgkmcnt(0)
	s_add_u32 s18, s0, 8
	s_mov_b64 s[16:17], 1
	v_mov_b32_e32 v2, 0
	s_addc_u32 s19, s1, 0
	v_mov_b32_e32 v6, v73
.LBB0_2:                                ; =>This Inner Loop Header: Depth=1
	s_load_dwordx2 s[20:21], s[18:19], 0x0
                                        ; implicit-def: $vgpr7_vgpr8
	s_waitcnt lgkmcnt(0)
	v_or_b32_e32 v4, s21, v6
	v_cmp_ne_u64_e32 vcc, 0, v[3:4]
	s_and_saveexec_b64 s[0:1], vcc
	s_xor_b64 s[22:23], exec, s[0:1]
	s_cbranch_execz .LBB0_4
; %bb.3:                                ;   in Loop: Header=BB0_2 Depth=1
	v_cvt_f32_u32_e32 v4, s20
	v_cvt_f32_u32_e32 v7, s21
	s_sub_u32 s0, 0, s20
	s_subb_u32 s1, 0, s21
	v_mac_f32_e32 v4, 0x4f800000, v7
	v_rcp_f32_e32 v4, v4
	v_mul_f32_e32 v4, 0x5f7ffffc, v4
	v_mul_f32_e32 v7, 0x2f800000, v4
	v_trunc_f32_e32 v7, v7
	v_mac_f32_e32 v4, 0xcf800000, v7
	v_cvt_u32_f32_e32 v7, v7
	v_cvt_u32_f32_e32 v4, v4
	v_mul_lo_u32 v8, s0, v7
	v_mul_hi_u32 v9, s0, v4
	v_mul_lo_u32 v11, s1, v4
	v_mul_lo_u32 v10, s0, v4
	v_add_u32_e32 v8, v9, v8
	v_add_u32_e32 v8, v8, v11
	v_mul_hi_u32 v9, v4, v10
	v_mul_lo_u32 v11, v4, v8
	v_mul_hi_u32 v13, v4, v8
	v_mul_hi_u32 v12, v7, v10
	v_mul_lo_u32 v10, v7, v10
	v_mul_hi_u32 v14, v7, v8
	v_add_co_u32_e32 v9, vcc, v9, v11
	v_addc_co_u32_e32 v11, vcc, 0, v13, vcc
	v_mul_lo_u32 v8, v7, v8
	v_add_co_u32_e32 v9, vcc, v9, v10
	v_addc_co_u32_e32 v9, vcc, v11, v12, vcc
	v_addc_co_u32_e32 v10, vcc, 0, v14, vcc
	v_add_co_u32_e32 v8, vcc, v9, v8
	v_addc_co_u32_e32 v9, vcc, 0, v10, vcc
	v_add_co_u32_e32 v4, vcc, v4, v8
	v_addc_co_u32_e32 v7, vcc, v7, v9, vcc
	v_mul_lo_u32 v8, s0, v7
	v_mul_hi_u32 v9, s0, v4
	v_mul_lo_u32 v10, s1, v4
	v_mul_lo_u32 v11, s0, v4
	v_add_u32_e32 v8, v9, v8
	v_add_u32_e32 v8, v8, v10
	v_mul_lo_u32 v12, v4, v8
	v_mul_hi_u32 v13, v4, v11
	v_mul_hi_u32 v14, v4, v8
	;; [unrolled: 1-line block ×3, first 2 shown]
	v_mul_lo_u32 v11, v7, v11
	v_mul_hi_u32 v9, v7, v8
	v_add_co_u32_e32 v12, vcc, v13, v12
	v_addc_co_u32_e32 v13, vcc, 0, v14, vcc
	v_mul_lo_u32 v8, v7, v8
	v_add_co_u32_e32 v11, vcc, v12, v11
	v_addc_co_u32_e32 v10, vcc, v13, v10, vcc
	v_addc_co_u32_e32 v9, vcc, 0, v9, vcc
	v_add_co_u32_e32 v8, vcc, v10, v8
	v_addc_co_u32_e32 v9, vcc, 0, v9, vcc
	v_add_co_u32_e32 v4, vcc, v4, v8
	v_addc_co_u32_e32 v9, vcc, v7, v9, vcc
	v_mad_u64_u32 v[7:8], s[0:1], v5, v9, 0
	v_mul_hi_u32 v10, v5, v4
	v_add_co_u32_e32 v11, vcc, v10, v7
	v_addc_co_u32_e32 v12, vcc, 0, v8, vcc
	v_mad_u64_u32 v[7:8], s[0:1], v6, v4, 0
	v_mad_u64_u32 v[9:10], s[0:1], v6, v9, 0
	v_add_co_u32_e32 v4, vcc, v11, v7
	v_addc_co_u32_e32 v4, vcc, v12, v8, vcc
	v_addc_co_u32_e32 v7, vcc, 0, v10, vcc
	v_add_co_u32_e32 v4, vcc, v4, v9
	v_addc_co_u32_e32 v9, vcc, 0, v7, vcc
	v_mul_lo_u32 v10, s21, v4
	v_mul_lo_u32 v11, s20, v9
	v_mad_u64_u32 v[7:8], s[0:1], s20, v4, 0
	v_add3_u32 v8, v8, v11, v10
	v_sub_u32_e32 v10, v6, v8
	v_mov_b32_e32 v11, s21
	v_sub_co_u32_e32 v7, vcc, v5, v7
	v_subb_co_u32_e64 v10, s[0:1], v10, v11, vcc
	v_subrev_co_u32_e64 v11, s[0:1], s20, v7
	v_subbrev_co_u32_e64 v10, s[0:1], 0, v10, s[0:1]
	v_cmp_le_u32_e64 s[0:1], s21, v10
	v_cndmask_b32_e64 v12, 0, -1, s[0:1]
	v_cmp_le_u32_e64 s[0:1], s20, v11
	v_cndmask_b32_e64 v11, 0, -1, s[0:1]
	v_cmp_eq_u32_e64 s[0:1], s21, v10
	v_cndmask_b32_e64 v10, v12, v11, s[0:1]
	v_add_co_u32_e64 v11, s[0:1], 2, v4
	v_addc_co_u32_e64 v12, s[0:1], 0, v9, s[0:1]
	v_add_co_u32_e64 v13, s[0:1], 1, v4
	v_addc_co_u32_e64 v14, s[0:1], 0, v9, s[0:1]
	v_subb_co_u32_e32 v8, vcc, v6, v8, vcc
	v_cmp_ne_u32_e64 s[0:1], 0, v10
	v_cmp_le_u32_e32 vcc, s21, v8
	v_cndmask_b32_e64 v10, v14, v12, s[0:1]
	v_cndmask_b32_e64 v12, 0, -1, vcc
	v_cmp_le_u32_e32 vcc, s20, v7
	v_cndmask_b32_e64 v7, 0, -1, vcc
	v_cmp_eq_u32_e32 vcc, s21, v8
	v_cndmask_b32_e32 v7, v12, v7, vcc
	v_cmp_ne_u32_e32 vcc, 0, v7
	v_cndmask_b32_e64 v7, v13, v11, s[0:1]
	v_cndmask_b32_e32 v8, v9, v10, vcc
	v_cndmask_b32_e32 v7, v4, v7, vcc
.LBB0_4:                                ;   in Loop: Header=BB0_2 Depth=1
	s_andn2_saveexec_b64 s[0:1], s[22:23]
	s_cbranch_execz .LBB0_6
; %bb.5:                                ;   in Loop: Header=BB0_2 Depth=1
	v_cvt_f32_u32_e32 v4, s20
	s_sub_i32 s22, 0, s20
	v_rcp_iflag_f32_e32 v4, v4
	v_mul_f32_e32 v4, 0x4f7ffffe, v4
	v_cvt_u32_f32_e32 v4, v4
	v_mul_lo_u32 v7, s22, v4
	v_mul_hi_u32 v7, v4, v7
	v_add_u32_e32 v4, v4, v7
	v_mul_hi_u32 v4, v5, v4
	v_mul_lo_u32 v7, v4, s20
	v_add_u32_e32 v8, 1, v4
	v_sub_u32_e32 v7, v5, v7
	v_subrev_u32_e32 v9, s20, v7
	v_cmp_le_u32_e32 vcc, s20, v7
	v_cndmask_b32_e32 v7, v7, v9, vcc
	v_cndmask_b32_e32 v4, v4, v8, vcc
	v_add_u32_e32 v8, 1, v4
	v_cmp_le_u32_e32 vcc, s20, v7
	v_cndmask_b32_e32 v7, v4, v8, vcc
	v_mov_b32_e32 v8, v3
.LBB0_6:                                ;   in Loop: Header=BB0_2 Depth=1
	s_or_b64 exec, exec, s[0:1]
	v_mul_lo_u32 v4, v8, s20
	v_mul_lo_u32 v11, v7, s21
	v_mad_u64_u32 v[9:10], s[0:1], v7, s20, 0
	s_load_dwordx2 s[0:1], s[6:7], 0x0
	s_add_u32 s16, s16, 1
	v_add3_u32 v4, v10, v11, v4
	v_sub_co_u32_e32 v5, vcc, v5, v9
	v_subb_co_u32_e32 v4, vcc, v6, v4, vcc
	s_waitcnt lgkmcnt(0)
	v_mul_lo_u32 v4, s0, v4
	v_mul_lo_u32 v6, s1, v5
	v_mad_u64_u32 v[1:2], s[0:1], s0, v5, v[1:2]
	s_addc_u32 s17, s17, 0
	s_add_u32 s6, s6, 8
	v_add3_u32 v2, v6, v2, v4
	v_mov_b32_e32 v4, s10
	v_mov_b32_e32 v5, s11
	s_addc_u32 s7, s7, 0
	v_cmp_ge_u64_e32 vcc, s[16:17], v[4:5]
	s_add_u32 s18, s18, 8
	s_addc_u32 s19, s19, 0
	s_cbranch_vccnz .LBB0_8
; %bb.7:                                ;   in Loop: Header=BB0_2 Depth=1
	v_mov_b32_e32 v5, v7
	v_mov_b32_e32 v6, v8
	s_branch .LBB0_2
.LBB0_8:
	s_lshl_b64 s[0:1], s[10:11], 3
	s_add_u32 s0, s2, s0
	s_addc_u32 s1, s3, s1
	s_load_dwordx2 s[2:3], s[0:1], 0x0
	s_load_dwordx2 s[6:7], s[4:5], 0x20
                                        ; implicit-def: $vgpr14_vgpr15
                                        ; implicit-def: $vgpr10_vgpr11
                                        ; implicit-def: $vgpr18_vgpr19
                                        ; implicit-def: $vgpr22_vgpr23
                                        ; implicit-def: $vgpr30_vgpr31
                                        ; implicit-def: $vgpr34_vgpr35
                                        ; implicit-def: $vgpr38_vgpr39
                                        ; implicit-def: $vgpr42_vgpr43
                                        ; implicit-def: $vgpr46_vgpr47
                                        ; implicit-def: $vgpr50_vgpr51
                                        ; implicit-def: $vgpr54_vgpr55
                                        ; implicit-def: $vgpr58_vgpr59
                                        ; implicit-def: $vgpr62_vgpr63
                                        ; implicit-def: $vgpr66_vgpr67
                                        ; implicit-def: $vgpr70_vgpr71
                                        ; implicit-def: $vgpr26_vgpr27
	s_waitcnt lgkmcnt(0)
	v_mad_u64_u32 v[1:2], s[0:1], s2, v7, v[1:2]
	s_mov_b32 s0, 0x7878788
	v_mul_lo_u32 v3, s2, v8
	v_mul_lo_u32 v4, s3, v7
	v_mul_hi_u32 v5, v0, s0
	v_cmp_gt_u64_e32 vcc, s[6:7], v[7:8]
                                        ; implicit-def: $vgpr6_vgpr7
	v_add3_u32 v2, v4, v2, v3
	v_mul_u32_u24_e32 v3, 34, v5
	v_sub_u32_e32 v150, v0, v3
	v_cmp_gt_u32_e64 s[0:1], 30, v150
	v_lshlrev_b64 v[100:101], 4, v[1:2]
	s_and_b64 s[2:3], vcc, s[0:1]
	s_and_saveexec_b64 s[4:5], s[2:3]
	s_cbranch_execz .LBB0_10
; %bb.9:
	v_mad_u64_u32 v[0:1], s[2:3], s12, v150, 0
	v_add_u32_e32 v5, 30, v150
	v_mov_b32_e32 v4, s15
	v_mad_u64_u32 v[1:2], s[2:3], s13, v150, v[1:2]
	v_mad_u64_u32 v[2:3], s[2:3], s12, v5, 0
	v_add_co_u32_e64 v18, s[2:3], s14, v100
	v_addc_co_u32_e64 v19, s[2:3], v4, v101, s[2:3]
	v_mad_u64_u32 v[3:4], s[2:3], s13, v5, v[3:4]
	v_add_u32_e32 v6, 60, v150
	v_mad_u64_u32 v[4:5], s[2:3], s12, v6, 0
	v_lshlrev_b64 v[0:1], 4, v[0:1]
	v_add_u32_e32 v8, 0x5a, v150
	v_add_co_u32_e64 v0, s[2:3], v18, v0
	v_addc_co_u32_e64 v1, s[2:3], v19, v1, s[2:3]
	v_mad_u64_u32 v[5:6], s[2:3], s13, v6, v[5:6]
	v_mad_u64_u32 v[6:7], s[2:3], s12, v8, 0
	v_lshlrev_b64 v[2:3], 4, v[2:3]
	v_add_u32_e32 v10, 0x78, v150
	v_add_co_u32_e64 v2, s[2:3], v18, v2
	v_addc_co_u32_e64 v3, s[2:3], v19, v3, s[2:3]
	v_mad_u64_u32 v[7:8], s[2:3], s13, v8, v[7:8]
	;; [unrolled: 6-line block ×4, first 2 shown]
	v_mad_u64_u32 v[12:13], s[2:3], s12, v16, 0
	v_lshlrev_b64 v[8:9], 4, v[8:9]
	v_add_co_u32_e64 v14, s[2:3], v18, v8
	v_addc_co_u32_e64 v15, s[2:3], v19, v9, s[2:3]
	v_lshlrev_b64 v[8:9], 4, v[10:11]
	v_mov_b32_e32 v10, v13
	v_mad_u64_u32 v[10:11], s[2:3], s13, v16, v[10:11]
	v_add_u32_e32 v11, 0xd2, v150
	v_mad_u64_u32 v[16:17], s[2:3], s12, v11, 0
	v_add_co_u32_e64 v73, s[2:3], v18, v8
	v_mov_b32_e32 v13, v10
	v_mov_b32_e32 v10, v17
	v_addc_co_u32_e64 v74, s[2:3], v19, v9, s[2:3]
	v_lshlrev_b64 v[8:9], 4, v[12:13]
	v_mad_u64_u32 v[10:11], s[2:3], s13, v11, v[10:11]
	v_add_u32_e32 v13, 0xf0, v150
	v_mad_u64_u32 v[11:12], s[2:3], s12, v13, 0
	v_add_co_u32_e64 v75, s[2:3], v18, v8
	v_mov_b32_e32 v17, v10
	v_mov_b32_e32 v10, v12
	v_addc_co_u32_e64 v76, s[2:3], v19, v9, s[2:3]
	v_mad_u64_u32 v[12:13], s[2:3], s13, v13, v[10:11]
	v_add_u32_e32 v13, 0x10e, v150
	v_lshlrev_b64 v[8:9], 4, v[16:17]
	v_mad_u64_u32 v[16:17], s[2:3], s12, v13, 0
	v_add_co_u32_e64 v77, s[2:3], v18, v8
	v_mov_b32_e32 v10, v17
	v_addc_co_u32_e64 v78, s[2:3], v19, v9, s[2:3]
	v_lshlrev_b64 v[8:9], 4, v[11:12]
	v_mad_u64_u32 v[10:11], s[2:3], s13, v13, v[10:11]
	v_add_u32_e32 v13, 0x12c, v150
	v_mad_u64_u32 v[11:12], s[2:3], s12, v13, 0
	v_add_co_u32_e64 v79, s[2:3], v18, v8
	v_mov_b32_e32 v17, v10
	v_mov_b32_e32 v10, v12
	v_addc_co_u32_e64 v80, s[2:3], v19, v9, s[2:3]
	v_mad_u64_u32 v[12:13], s[2:3], s13, v13, v[10:11]
	v_add_u32_e32 v13, 0x14a, v150
	v_lshlrev_b64 v[8:9], 4, v[16:17]
	v_mad_u64_u32 v[16:17], s[2:3], s12, v13, 0
	v_add_co_u32_e64 v81, s[2:3], v18, v8
	;; [unrolled: 15-line block ×4, first 2 shown]
	v_mov_b32_e32 v10, v17
	v_addc_co_u32_e64 v90, s[2:3], v19, v9, s[2:3]
	v_lshlrev_b64 v[8:9], 4, v[11:12]
	v_mad_u64_u32 v[10:11], s[2:3], s13, v13, v[10:11]
	v_or_b32_e32 v13, 0x1e0, v150
	v_mad_u64_u32 v[11:12], s[2:3], s12, v13, 0
	v_add_co_u32_e64 v91, s[2:3], v18, v8
	v_mov_b32_e32 v17, v10
	v_mov_b32_e32 v10, v12
	v_addc_co_u32_e64 v92, s[2:3], v19, v9, s[2:3]
	v_mad_u64_u32 v[12:13], s[2:3], s13, v13, v[10:11]
	v_lshlrev_b64 v[8:9], 4, v[16:17]
	v_add_co_u32_e64 v93, s[2:3], v18, v8
	v_addc_co_u32_e64 v94, s[2:3], v19, v9, s[2:3]
	v_lshlrev_b64 v[8:9], 4, v[11:12]
	v_add_co_u32_e64 v95, s[2:3], v18, v8
	v_addc_co_u32_e64 v96, s[2:3], v19, v9, s[2:3]
	global_load_dwordx4 v[24:27], v[0:1], off
	global_load_dwordx4 v[68:71], v[2:3], off
	;; [unrolled: 1-line block ×15, first 2 shown]
                                        ; kill: killed $vgpr83 killed $vgpr84
                                        ; kill: killed $vgpr4 killed $vgpr5
                                        ; kill: killed $vgpr85 killed $vgpr86
                                        ; kill: killed $vgpr6 killed $vgpr7
                                        ; kill: killed $vgpr87 killed $vgpr88
                                        ; kill: killed $vgpr14 killed $vgpr15
                                        ; kill: killed $vgpr89 killed $vgpr90
                                        ; kill: killed $vgpr73 killed $vgpr74
                                        ; kill: killed $vgpr91 killed $vgpr92
                                        ; kill: killed $vgpr75 killed $vgpr76
                                        ; kill: killed $vgpr77 killed $vgpr78
                                        ; kill: killed $vgpr79 killed $vgpr80
                                        ; kill: killed $vgpr0 killed $vgpr1
                                        ; kill: killed $vgpr81 killed $vgpr82
                                        ; kill: killed $vgpr2 killed $vgpr3
	global_load_dwordx4 v[12:15], v[93:94], off
	global_load_dwordx4 v[4:7], v[95:96], off
.LBB0_10:
	s_or_b64 exec, exec, s[4:5]
	s_waitcnt vmcnt(0)
	v_add_f64 v[73:74], v[70:71], -v[6:7]
	s_mov_b32 s2, 0x2a9d6da3
	s_mov_b32 s3, 0xbfe58eea
	v_add_f64 v[75:76], v[4:5], v[68:69]
	v_add_f64 v[77:78], v[66:67], -v[14:15]
	s_mov_b32 s6, 0x75d4884
	s_mov_b32 s4, 0xeb564b22
	;; [unrolled: 1-line block ×3, first 2 shown]
	v_mul_f64 v[79:80], v[73:74], s[2:3]
	s_mov_b32 s7, 0x3fe7a5f6
	s_mov_b32 s5, 0xbfefdd0d
	s_mov_b32 s19, 0xbfeca52d
	v_mul_f64 v[102:103], v[73:74], s[18:19]
	v_add_f64 v[85:86], v[12:13], v[64:65]
	v_mul_f64 v[81:82], v[77:78], s[4:5]
	v_add_f64 v[83:84], v[62:63], -v[10:11]
	v_fma_f64 v[0:1], v[75:76], s[6:7], -v[79:80]
	s_mov_b32 s22, 0x2b2883cd
	s_mov_b32 s10, 0x6c9a05f6
	;; [unrolled: 1-line block ×6, first 2 shown]
	v_fma_f64 v[2:3], v[75:76], s[22:23], -v[102:103]
	v_mul_f64 v[104:105], v[77:78], s[10:11]
	v_add_f64 v[0:1], v[24:25], v[0:1]
	v_fma_f64 v[89:90], v[85:86], s[26:27], -v[81:82]
	v_add_f64 v[91:92], v[8:9], v[60:61]
	v_mul_f64 v[87:88], v[83:84], s[10:11]
	s_mov_b32 s20, 0x6ed5f1bb
	s_mov_b32 s16, 0xacd6c6b4
	;; [unrolled: 1-line block ×4, first 2 shown]
	v_add_f64 v[2:3], v[24:25], v[2:3]
	v_fma_f64 v[93:94], v[85:86], s[20:21], -v[104:105]
	v_mul_f64 v[112:113], v[83:84], s[16:17]
	v_add_f64 v[0:1], v[89:90], v[0:1]
	v_add_f64 v[89:90], v[58:59], -v[18:19]
	v_fma_f64 v[95:96], v[91:92], s[20:21], -v[87:88]
	s_mov_b32 s28, 0x7faef3
	s_mov_b32 s30, 0x923c349f
	;; [unrolled: 1-line block ×6, first 2 shown]
	v_add_f64 v[2:3], v[93:94], v[2:3]
	v_fma_f64 v[106:107], v[91:92], s[28:29], -v[112:113]
	v_add_f64 v[97:98], v[16:17], v[56:57]
	v_mul_f64 v[93:94], v[89:90], s[24:25]
	v_mul_f64 v[120:121], v[89:90], s[30:31]
	v_add_f64 v[0:1], v[95:96], v[0:1]
	v_add_f64 v[95:96], v[54:55], -v[22:23]
	s_mov_b32 s36, 0xc61f0d01
	s_mov_b32 s34, 0x4363dd80
	;; [unrolled: 1-line block ×4, first 2 shown]
	v_add_f64 v[2:3], v[106:107], v[2:3]
	v_fma_f64 v[114:115], v[97:98], s[28:29], -v[93:94]
	v_fma_f64 v[116:117], v[97:98], s[36:37], -v[120:121]
	v_add_f64 v[108:109], v[20:21], v[52:53]
	v_mul_f64 v[110:111], v[95:96], s[34:35]
	s_mov_b32 s40, 0x910ea3b9
	s_mov_b32 s43, 0x3fe58eea
	;; [unrolled: 1-line block ×4, first 2 shown]
	v_mul_f64 v[130:131], v[95:96], s[42:43]
	v_add_f64 v[106:107], v[50:51], -v[30:31]
	v_add_f64 v[0:1], v[114:115], v[0:1]
	v_add_f64 v[2:3], v[116:117], v[2:3]
	v_fma_f64 v[116:117], v[108:109], s[40:41], -v[110:111]
	s_mov_b32 s44, 0x5d8e7cdc
	s_mov_b32 s45, 0xbfd71e95
	v_add_f64 v[118:119], v[28:29], v[48:49]
	v_fma_f64 v[122:123], v[108:109], s[6:7], -v[130:131]
	v_mul_f64 v[114:115], v[106:107], s[30:31]
	v_mul_f64 v[134:135], v[106:107], s[44:45]
	s_mov_b32 s50, 0x370991
	v_add_f64 v[0:1], v[116:117], v[0:1]
	v_add_f64 v[116:117], v[46:47], -v[34:35]
	s_mov_b32 s51, 0x3fedd6d0
	s_mov_b32 s47, 0x3feca52d
	;; [unrolled: 1-line block ×3, first 2 shown]
	v_add_f64 v[2:3], v[122:123], v[2:3]
	v_fma_f64 v[128:129], v[118:119], s[36:37], -v[114:115]
	v_fma_f64 v[132:133], v[118:119], s[50:51], -v[134:135]
	v_add_f64 v[126:127], v[32:33], v[44:45]
	v_mul_f64 v[124:125], v[116:117], s[46:47]
	v_mul_f64 v[136:137], v[116:117], s[4:5]
	v_add_f64 v[122:123], v[42:43], -v[38:39]
	s_mov_b32 s53, 0x3fd71e95
	s_mov_b32 s52, s44
	;; [unrolled: 1-line block ×4, first 2 shown]
	v_add_f64 v[0:1], v[128:129], v[0:1]
	v_add_f64 v[2:3], v[132:133], v[2:3]
	v_fma_f64 v[140:141], v[126:127], s[22:23], -v[124:125]
	v_fma_f64 v[142:143], v[126:127], s[26:27], -v[136:137]
	v_add_f64 v[132:133], v[36:37], v[40:41]
	v_mul_f64 v[128:129], v[122:123], s[52:53]
	v_mul_f64 v[138:139], v[122:123], s[48:49]
	s_mov_b32 s33, 0x24924925
	v_mul_hi_u32 v99, v72, s33
	v_add_f64 v[0:1], v[140:141], v[0:1]
	v_add_f64 v[140:141], v[142:143], v[2:3]
	v_fma_f64 v[2:3], v[132:133], s[50:51], -v[128:129]
	v_fma_f64 v[142:143], v[132:133], s[40:41], -v[138:139]
	v_add_f64 v[2:3], v[2:3], v[0:1]
	v_add_f64 v[0:1], v[142:143], v[140:141]
	v_sub_u32_e32 v140, v72, v99
	v_lshrrev_b32_e32 v140, 1, v140
	v_add_u32_e32 v99, v140, v99
	v_lshrrev_b32_e32 v99, 2, v99
	v_mul_lo_u32 v99, v99, 7
	v_sub_u32_e32 v72, v72, v99
	v_mul_u32_u24_e32 v72, 0x1fe, v72
	v_lshlrev_b32_e32 v151, 3, v72
	s_and_saveexec_b64 s[38:39], s[0:1]
	s_cbranch_execz .LBB0_12
; %bb.11:
	v_mul_f64 v[152:153], v[75:76], s[28:29]
	v_mul_f64 v[166:167], v[85:86], s[50:51]
	;; [unrolled: 1-line block ×6, first 2 shown]
	s_mov_b32 s55, 0x3fe9895b
	s_mov_b32 s54, s10
	v_fma_f64 v[140:141], v[73:74], s[16:17], v[152:153]
	v_fma_f64 v[174:175], v[77:78], s[44:45], v[166:167]
	;; [unrolled: 1-line block ×8, first 2 shown]
	v_add_f64 v[176:177], v[24:25], v[140:141]
	s_mov_b32 s57, 0x3fefdd0d
	s_mov_b32 s56, s4
	v_fma_f64 v[202:203], v[95:96], s[54:55], v[190:191]
	v_add_f64 v[152:153], v[24:25], v[152:153]
	v_add_f64 v[204:205], v[24:25], v[204:205]
	;; [unrolled: 1-line block ×3, first 2 shown]
	v_fma_f64 v[172:173], v[83:84], s[48:49], v[172:173]
	v_add_f64 v[174:175], v[174:175], v[176:177]
	v_fma_f64 v[184:185], v[89:90], s[42:43], v[184:185]
	v_mul_f64 v[188:189], v[118:119], s[22:23]
	v_fma_f64 v[190:191], v[95:96], s[10:11], v[190:191]
	v_add_f64 v[152:153], v[166:167], v[152:153]
	v_mul_f64 v[166:167], v[97:98], s[20:21]
	v_mul_f64 v[176:177], v[126:127], s[36:37]
	s_mov_b32 s59, 0xbfeec746
	v_add_f64 v[174:175], v[186:187], v[174:175]
	v_mul_f64 v[186:187], v[85:86], s[22:23]
	v_fma_f64 v[200:201], v[106:107], s[18:19], v[188:189]
	s_mov_b32 s58, s30
	v_add_f64 v[152:153], v[172:173], v[152:153]
	v_mul_f64 v[172:173], v[108:109], s[50:51]
	v_fma_f64 v[198:199], v[116:117], s[30:31], v[176:177]
	v_mul_f64 v[182:183], v[132:133], s[26:27]
	v_add_f64 v[174:175], v[194:195], v[174:175]
	v_mul_f64 v[194:195], v[91:92], s[26:27]
	v_fma_f64 v[206:207], v[77:78], s[18:19], v[186:187]
	v_fma_f64 v[186:187], v[77:78], s[46:47], v[186:187]
	v_add_f64 v[152:153], v[184:185], v[152:153]
	v_mul_f64 v[184:185], v[118:119], s[28:29]
	v_mul_f64 v[214:215], v[85:86], s[40:41]
	v_fma_f64 v[196:197], v[122:123], s[4:5], v[182:183]
	v_add_f64 v[174:175], v[202:203], v[174:175]
	v_fma_f64 v[208:209], v[83:84], s[56:57], v[194:195]
	v_add_f64 v[204:205], v[206:207], v[204:205]
	;; [unrolled: 2-line block ×3, first 2 shown]
	v_fma_f64 v[192:193], v[89:90], s[10:11], v[166:167]
	v_fma_f64 v[166:167], v[89:90], s[54:55], v[166:167]
	v_add_f64 v[152:153], v[190:191], v[152:153]
	v_fma_f64 v[190:191], v[106:107], s[16:17], v[184:185]
	v_fma_f64 v[184:185], v[106:107], s[24:25], v[184:185]
	v_add_f64 v[202:203], v[208:209], v[204:205]
	v_add_f64 v[174:175], v[200:201], v[174:175]
	;; [unrolled: 1-line block ×3, first 2 shown]
	v_fma_f64 v[194:195], v[95:96], s[52:53], v[172:173]
	v_fma_f64 v[172:173], v[95:96], s[44:45], v[172:173]
	v_mul_f64 v[200:201], v[91:92], s[50:51]
	v_mul_f64 v[204:205], v[75:76], s[36:37]
	;; [unrolled: 1-line block ×3, first 2 shown]
	v_add_f64 v[192:193], v[192:193], v[202:203]
	v_add_f64 v[174:175], v[198:199], v[174:175]
	;; [unrolled: 1-line block ×3, first 2 shown]
	v_fma_f64 v[186:187], v[106:107], s[46:47], v[188:189]
	v_mul_f64 v[188:189], v[126:127], s[6:7]
	v_fma_f64 v[212:213], v[83:84], s[52:53], v[200:201]
	v_fma_f64 v[216:217], v[73:74], s[58:59], v[204:205]
	;; [unrolled: 1-line block ×3, first 2 shown]
	v_add_f64 v[192:193], v[194:195], v[192:193]
	v_fma_f64 v[182:183], v[122:123], s[56:57], v[182:183]
	v_add_f64 v[166:167], v[172:173], v[166:167]
	v_fma_f64 v[172:173], v[116:117], s[58:59], v[176:177]
	v_add_f64 v[152:153], v[186:187], v[152:153]
	v_mul_f64 v[176:177], v[132:133], s[36:37]
	v_fma_f64 v[186:187], v[116:117], s[2:3], v[188:189]
	v_fma_f64 v[188:189], v[116:117], s[42:43], v[188:189]
	v_add_f64 v[190:191], v[190:191], v[192:193]
	v_mul_f64 v[198:199], v[108:109], s[26:27]
	v_add_f64 v[166:167], v[184:185], v[166:167]
	v_mul_f64 v[218:219], v[91:92], s[6:7]
	v_add_f64 v[152:153], v[172:173], v[152:153]
	v_fma_f64 v[172:173], v[122:123], s[30:31], v[176:177]
	v_fma_f64 v[176:177], v[122:123], s[58:59], v[176:177]
	v_fma_f64 v[220:221], v[77:78], s[34:35], v[214:215]
	v_add_f64 v[186:187], v[186:187], v[190:191]
	v_mul_f64 v[190:191], v[75:76], s[20:21]
	v_add_f64 v[166:167], v[188:189], v[166:167]
	v_add_f64 v[216:217], v[24:25], v[216:217]
	v_fma_f64 v[200:201], v[83:84], s[44:45], v[200:201]
	v_add_f64 v[204:205], v[24:25], v[204:205]
	v_add_f64 v[152:153], v[182:183], v[152:153]
	v_mul_f64 v[182:183], v[118:119], s[6:7]
	v_fma_f64 v[210:211], v[95:96], s[4:5], v[198:199]
	v_fma_f64 v[194:195], v[73:74], s[54:55], v[190:191]
	v_add_f64 v[166:167], v[176:177], v[166:167]
	v_mul_f64 v[176:177], v[85:86], s[36:37]
	v_fma_f64 v[190:191], v[73:74], s[10:11], v[190:191]
	v_add_f64 v[216:217], v[220:221], v[216:217]
	v_mul_f64 v[192:193], v[126:127], s[28:29]
	v_fma_f64 v[202:203], v[106:107], s[42:43], v[182:183]
	v_fma_f64 v[198:199], v[95:96], s[56:57], v[198:199]
	v_add_f64 v[194:195], v[24:25], v[194:195]
	v_add_f64 v[174:175], v[196:197], v[174:175]
	v_fma_f64 v[206:207], v[77:78], s[58:59], v[176:177]
	v_fma_f64 v[176:177], v[77:78], s[30:31], v[176:177]
	v_add_f64 v[190:191], v[24:25], v[190:191]
	v_fma_f64 v[196:197], v[116:117], s[16:17], v[192:193]
	v_fma_f64 v[182:183], v[106:107], s[2:3], v[182:183]
	v_mul_f64 v[188:189], v[132:133], s[22:23]
	v_fma_f64 v[192:193], v[116:117], s[24:25], v[192:193]
	v_add_f64 v[172:173], v[172:173], v[186:187]
	v_add_f64 v[194:195], v[206:207], v[194:195]
	v_fma_f64 v[206:207], v[89:90], s[34:35], v[208:209]
	v_add_f64 v[176:177], v[176:177], v[190:191]
	v_fma_f64 v[208:209], v[89:90], s[48:49], v[208:209]
	v_mul_f64 v[156:157], v[75:76], s[22:23]
	v_fma_f64 v[186:187], v[122:123], s[18:19], v[188:189]
	v_fma_f64 v[188:189], v[122:123], s[46:47], v[188:189]
	v_mul_f64 v[160:161], v[85:86], s[20:21]
	v_add_f64 v[190:191], v[212:213], v[194:195]
	v_fma_f64 v[194:195], v[77:78], s[48:49], v[214:215]
	v_mul_f64 v[212:213], v[97:98], s[22:23]
	v_fma_f64 v[214:215], v[83:84], s[42:43], v[218:219]
	v_add_f64 v[176:177], v[200:201], v[176:177]
	v_fma_f64 v[200:201], v[83:84], s[2:3], v[218:219]
	v_add_f64 v[102:103], v[102:103], v[156:157]
	v_mul_f64 v[164:165], v[91:92], s[28:29]
	v_add_f64 v[190:191], v[206:207], v[190:191]
	v_add_f64 v[194:195], v[194:195], v[204:205]
	v_mul_f64 v[204:205], v[108:109], s[28:29]
	v_fma_f64 v[206:207], v[89:90], s[18:19], v[212:213]
	v_add_f64 v[214:215], v[214:215], v[216:217]
	v_add_f64 v[176:177], v[208:209], v[176:177]
	v_fma_f64 v[208:209], v[89:90], s[46:47], v[212:213]
	v_add_f64 v[104:105], v[104:105], v[160:161]
	v_add_f64 v[190:191], v[210:211], v[190:191]
	;; [unrolled: 1-line block ×3, first 2 shown]
	v_mul_f64 v[200:201], v[118:119], s[26:27]
	v_fma_f64 v[210:211], v[95:96], s[24:25], v[204:205]
	v_add_f64 v[206:207], v[206:207], v[214:215]
	v_add_f64 v[176:177], v[198:199], v[176:177]
	v_fma_f64 v[198:199], v[95:96], s[16:17], v[204:205]
	v_add_f64 v[102:103], v[24:25], v[102:103]
	v_add_f64 v[190:191], v[202:203], v[190:191]
	;; [unrolled: 1-line block ×3, first 2 shown]
	v_mul_f64 v[202:203], v[126:127], s[50:51]
	v_fma_f64 v[204:205], v[106:107], s[56:57], v[200:201]
	v_add_f64 v[206:207], v[210:211], v[206:207]
	v_add_f64 v[176:177], v[182:183], v[176:177]
	v_mul_f64 v[168:169], v[97:98], s[36:37]
	v_add_f64 v[112:113], v[112:113], v[164:165]
	v_add_f64 v[182:183], v[196:197], v[190:191]
	v_fma_f64 v[190:191], v[106:107], s[4:5], v[200:201]
	v_add_f64 v[194:195], v[198:199], v[194:195]
	v_mul_f64 v[196:197], v[132:133], s[20:21]
	v_fma_f64 v[198:199], v[116:117], s[44:45], v[202:203]
	v_add_f64 v[200:201], v[204:205], v[206:207]
	v_add_f64 v[176:177], v[192:193], v[176:177]
	v_mul_f64 v[192:193], v[75:76], s[26:27]
	v_fma_f64 v[202:203], v[116:117], s[52:53], v[202:203]
	v_add_f64 v[182:183], v[186:187], v[182:183]
	v_add_f64 v[190:191], v[190:191], v[194:195]
	v_fma_f64 v[186:187], v[122:123], s[10:11], v[196:197]
	v_mul_f64 v[206:207], v[97:98], s[50:51]
	v_add_f64 v[194:195], v[198:199], v[200:201]
	v_mul_f64 v[198:199], v[85:86], s[28:29]
	v_add_f64 v[176:177], v[188:189], v[176:177]
	v_fma_f64 v[188:189], v[73:74], s[56:57], v[192:193]
	v_mul_f64 v[200:201], v[91:92], s[36:37]
	v_add_f64 v[190:191], v[202:203], v[190:191]
	v_add_f64 v[202:203], v[68:69], v[24:25]
	v_fma_f64 v[192:193], v[73:74], s[4:5], v[192:193]
	v_add_f64 v[186:187], v[186:187], v[194:195]
	v_fma_f64 v[194:195], v[77:78], s[16:17], v[198:199]
	v_fma_f64 v[198:199], v[77:78], s[24:25], v[198:199]
	v_add_f64 v[188:189], v[24:25], v[188:189]
	v_fma_f64 v[208:209], v[83:84], s[58:59], v[200:201]
	v_fma_f64 v[200:201], v[83:84], s[30:31], v[200:201]
	v_add_f64 v[202:203], v[64:65], v[202:203]
	v_add_f64 v[156:157], v[24:25], v[192:193]
	v_mul_f64 v[192:193], v[108:109], s[22:23]
	v_add_f64 v[102:103], v[104:105], v[102:103]
	v_mul_f64 v[170:171], v[108:109], s[6:7]
	v_add_f64 v[188:189], v[194:195], v[188:189]
	v_fma_f64 v[194:195], v[89:90], s[44:45], v[206:207]
	v_add_f64 v[120:121], v[120:121], v[168:169]
	v_add_f64 v[202:203], v[60:61], v[202:203]
	;; [unrolled: 1-line block ×3, first 2 shown]
	v_fma_f64 v[198:199], v[95:96], s[46:47], v[192:193]
	v_add_f64 v[102:103], v[112:113], v[102:103]
	v_mul_f64 v[154:155], v[75:76], s[6:7]
	v_add_f64 v[160:161], v[208:209], v[188:189]
	v_mul_f64 v[188:189], v[118:119], s[40:41]
	v_mul_f64 v[178:179], v[118:119], s[50:51]
	v_add_f64 v[202:203], v[56:57], v[202:203]
	v_add_f64 v[104:105], v[200:201], v[156:157]
	v_mul_f64 v[184:185], v[132:133], s[40:41]
	v_add_f64 v[130:131], v[130:131], v[170:171]
	v_add_f64 v[102:103], v[120:121], v[102:103]
	;; [unrolled: 1-line block ×3, first 2 shown]
	v_fma_f64 v[164:165], v[106:107], s[34:35], v[188:189]
	v_mul_f64 v[75:76], v[75:76], s[50:51]
	v_add_f64 v[194:195], v[52:53], v[202:203]
	v_mul_f64 v[158:159], v[85:86], s[26:27]
	v_add_f64 v[134:135], v[134:135], v[178:179]
	;; [unrolled: 2-line block ×3, first 2 shown]
	v_add_f64 v[112:113], v[198:199], v[156:157]
	v_add_f64 v[130:131], v[138:139], v[184:185]
	v_fma_f64 v[138:139], v[73:74], s[44:45], v[75:76]
	v_add_f64 v[194:195], v[48:49], v[194:195]
	v_add_f64 v[79:80], v[79:80], v[154:155]
	v_fma_f64 v[72:73], v[73:74], s[52:53], v[75:76]
	v_mul_f64 v[162:163], v[91:92], s[20:21]
	v_add_f64 v[102:103], v[134:135], v[102:103]
	v_add_f64 v[112:113], v[164:165], v[112:113]
	v_mul_f64 v[91:92], v[91:92], s[22:23]
	v_fma_f64 v[74:75], v[77:78], s[2:3], v[85:86]
	v_add_f64 v[164:165], v[44:45], v[194:195]
	v_add_f64 v[134:135], v[24:25], v[138:139]
	;; [unrolled: 1-line block ×4, first 2 shown]
	v_fma_f64 v[76:77], v[77:78], s[42:43], v[85:86]
	v_add_f64 v[24:25], v[24:25], v[72:73]
	v_mul_f64 v[148:149], v[97:98], s[28:29]
	v_mul_f64 v[97:98], v[97:98], s[26:27]
	v_add_f64 v[164:165], v[40:41], v[164:165]
	v_fma_f64 v[72:73], v[83:84], s[18:19], v[91:92]
	v_add_f64 v[74:75], v[74:75], v[134:135]
	v_add_f64 v[87:88], v[87:88], v[162:163]
	;; [unrolled: 1-line block ×3, first 2 shown]
	v_fma_f64 v[82:83], v[83:84], s[46:47], v[91:92]
	v_add_f64 v[24:25], v[76:77], v[24:25]
	v_add_f64 v[80:81], v[93:94], v[148:149]
	;; [unrolled: 1-line block ×3, first 2 shown]
	v_mul_f64 v[93:94], v[108:109], s[36:37]
	v_fma_f64 v[76:77], v[89:90], s[4:5], v[97:98]
	v_add_f64 v[72:73], v[72:73], v[74:75]
	v_mul_f64 v[146:147], v[108:109], s[40:41]
	v_add_f64 v[78:79], v[87:88], v[78:79]
	v_fma_f64 v[206:207], v[89:90], s[52:53], v[206:207]
	v_fma_f64 v[88:89], v[89:90], s[56:57], v[97:98]
	v_add_f64 v[85:86], v[32:33], v[138:139]
	v_add_f64 v[24:25], v[82:83], v[24:25]
	v_fma_f64 v[82:83], v[95:96], s[58:59], v[93:94]
	v_add_f64 v[72:73], v[76:77], v[72:73]
	v_mul_f64 v[144:145], v[118:119], s[36:37]
	v_add_f64 v[76:77], v[80:81], v[78:79]
	v_fma_f64 v[192:193], v[95:96], s[18:19], v[192:193]
	v_add_f64 v[104:105], v[206:207], v[104:105]
	v_add_f64 v[74:75], v[28:29], v[85:86]
	v_mul_f64 v[86:87], v[118:119], s[20:21]
	v_add_f64 v[84:85], v[110:111], v[146:147]
	v_fma_f64 v[90:91], v[95:96], s[30:31], v[93:94]
	v_add_f64 v[24:25], v[88:89], v[24:25]
	v_mul_f64 v[80:81], v[126:127], s[40:41]
	v_add_f64 v[72:73], v[82:83], v[72:73]
	v_mul_f64 v[142:143], v[126:127], s[22:23]
	v_add_f64 v[74:75], v[20:21], v[74:75]
	v_fma_f64 v[88:89], v[106:107], s[10:11], v[86:87]
	v_mul_f64 v[180:181], v[126:127], s[26:27]
	v_add_f64 v[78:79], v[114:115], v[144:145]
	v_add_f64 v[76:77], v[84:85], v[76:77]
	v_mul_f64 v[160:161], v[126:127], s[20:21]
	v_fma_f64 v[188:189], v[106:107], s[48:49], v[188:189]
	v_add_f64 v[104:105], v[192:193], v[104:105]
	v_add_f64 v[74:75], v[16:17], v[74:75]
	v_fma_f64 v[86:87], v[106:107], s[54:55], v[86:87]
	v_add_f64 v[24:25], v[90:91], v[24:25]
	v_mul_f64 v[84:85], v[132:133], s[28:29]
	v_fma_f64 v[90:91], v[116:117], s[48:49], v[80:81]
	v_add_f64 v[72:73], v[88:89], v[72:73]
	v_mul_f64 v[140:141], v[132:133], s[50:51]
	v_add_f64 v[136:137], v[136:137], v[180:181]
	v_add_f64 v[74:75], v[8:9], v[74:75]
	;; [unrolled: 1-line block ×4, first 2 shown]
	v_mul_f64 v[204:205], v[132:133], s[6:7]
	v_fma_f64 v[168:169], v[116:117], s[10:11], v[160:161]
	v_fma_f64 v[160:161], v[116:117], s[54:55], v[160:161]
	v_add_f64 v[104:105], v[188:189], v[104:105]
	v_fma_f64 v[80:81], v[116:117], s[34:35], v[80:81]
	v_add_f64 v[24:25], v[86:87], v[24:25]
	v_fma_f64 v[86:87], v[122:123], s[24:25], v[84:85]
	v_add_f64 v[72:73], v[90:91], v[72:73]
	v_add_f64 v[74:75], v[12:13], v[74:75]
	v_add_f64 v[78:79], v[136:137], v[102:103]
	;; [unrolled: 1-line block ×4, first 2 shown]
	v_fma_f64 v[120:121], v[122:123], s[42:43], v[204:205]
	v_add_f64 v[82:83], v[160:161], v[104:105]
	v_fma_f64 v[196:197], v[122:123], s[54:55], v[196:197]
	v_fma_f64 v[156:157], v[122:123], s[2:3], v[204:205]
	v_add_f64 v[90:91], v[168:169], v[112:113]
	v_fma_f64 v[84:85], v[122:123], s[16:17], v[84:85]
	v_add_f64 v[24:25], v[80:81], v[24:25]
	v_add_f64 v[72:73], v[86:87], v[72:73]
	;; [unrolled: 1-line block ×9, first 2 shown]
	v_mul_u32_u24_e32 v84, 0x88, v150
	v_add3_u32 v84, 0, v84, v151
	ds_write2_b64 v84, v[74:75], v[72:73] offset1:1
	ds_write2_b64 v84, v[76:77], v[78:79] offset0:2 offset1:3
	ds_write2_b64 v84, v[80:81], v[186:187] offset0:4 offset1:5
	;; [unrolled: 1-line block ×7, first 2 shown]
	ds_write_b64 v84, v[24:25] offset:128
.LBB0_12:
	s_or_b64 exec, exec, s[38:39]
	v_lshlrev_b32_e32 v24, 3, v150
	v_add_u32_e32 v142, 0, v24
	v_add_u32_e32 v141, v142, v151
	v_add3_u32 v140, 0, v151, v24
	v_add_u32_e32 v24, 0x400, v141
	s_waitcnt lgkmcnt(0)
	s_barrier
	ds_read2_b64 v[80:83], v24 offset0:127 offset1:161
	ds_read2_b64 v[84:87], v141 offset0:34 offset1:68
	v_add_u32_e32 v24, 0x800, v141
	ds_read2_b64 v[76:79], v24 offset0:67 offset1:101
	ds_read2_b64 v[92:95], v141 offset0:102 offset1:136
	;; [unrolled: 1-line block ×4, first 2 shown]
	ds_read_b64 v[104:105], v140
	ds_read_b64 v[102:103], v141 offset:3672
	v_cmp_gt_u32_e64 s[2:3], 17, v150
	s_and_saveexec_b64 s[4:5], s[2:3]
	s_cbranch_execz .LBB0_14
; %bb.13:
	v_add_u32_e32 v0, 0x770, v141
	ds_read2_b64 v[0:3], v0 offset1:255
.LBB0_14:
	s_or_b64 exec, exec, s[4:5]
	v_add_f64 v[122:123], v[68:69], -v[4:5]
	s_mov_b32 s30, 0x2a9d6da3
	s_mov_b32 s38, 0x7c9e640b
	;; [unrolled: 1-line block ×4, first 2 shown]
	v_add_f64 v[112:113], v[6:7], v[70:71]
	v_add_f64 v[138:139], v[64:65], -v[12:13]
	s_mov_b32 s16, 0x75d4884
	v_mul_f64 v[126:127], v[122:123], s[30:31]
	v_mul_f64 v[128:129], v[122:123], s[38:39]
	s_mov_b32 s4, 0x2b2883cd
	s_mov_b32 s20, 0x6c9a05f6
	;; [unrolled: 1-line block ×7, first 2 shown]
	v_add_f64 v[124:125], v[14:15], v[66:67]
	v_fma_f64 v[4:5], v[112:113], s[16:17], v[126:127]
	v_fma_f64 v[12:13], v[112:113], s[4:5], v[128:129]
	v_mul_f64 v[130:131], v[138:139], s[6:7]
	v_add_f64 v[116:117], v[60:61], -v[8:9]
	v_mul_f64 v[134:135], v[138:139], s[20:21]
	s_mov_b32 s10, 0x3259b75e
	s_mov_b32 s18, 0x6ed5f1bb
	;; [unrolled: 1-line block ×6, first 2 shown]
	v_add_f64 v[4:5], v[26:27], v[4:5]
	v_add_f64 v[8:9], v[26:27], v[12:13]
	v_fma_f64 v[12:13], v[124:125], s[10:11], v[130:131]
	v_fma_f64 v[24:25], v[124:125], s[18:19], v[134:135]
	v_add_f64 v[114:115], v[10:11], v[62:63]
	v_mul_f64 v[132:133], v[116:117], s[20:21]
	v_mul_f64 v[136:137], v[116:117], s[28:29]
	v_add_f64 v[106:107], v[56:57], -v[16:17]
	s_mov_b32 s26, 0x7faef3
	s_mov_b32 s50, 0x923c349f
	;; [unrolled: 1-line block ×5, first 2 shown]
	v_add_f64 v[4:5], v[12:13], v[4:5]
	v_add_f64 v[8:9], v[24:25], v[8:9]
	v_fma_f64 v[12:13], v[114:115], s[18:19], v[132:133]
	v_fma_f64 v[16:17], v[114:115], s[26:27], v[136:137]
	v_add_f64 v[68:69], v[18:19], v[58:59]
	v_mul_f64 v[118:119], v[106:107], s[28:29]
	v_mul_f64 v[120:121], v[106:107], s[50:51]
	v_add_f64 v[56:57], v[52:53], -v[20:21]
	s_mov_b32 s22, 0xc61f0d01
	s_mov_b32 s52, 0x4363dd80
	;; [unrolled: 1-line block ×6, first 2 shown]
	v_add_f64 v[4:5], v[12:13], v[4:5]
	v_add_f64 v[8:9], v[16:17], v[8:9]
	v_fma_f64 v[12:13], v[68:69], s[26:27], v[118:119]
	v_fma_f64 v[16:17], v[68:69], s[22:23], v[120:121]
	v_add_f64 v[52:53], v[22:23], v[54:55]
	v_mul_f64 v[110:111], v[56:57], s[52:53]
	v_mul_f64 v[108:109], v[56:57], s[34:35]
	v_add_f64 v[48:49], v[48:49], -v[28:29]
	s_mov_b32 s44, 0x910ea3b9
	s_mov_b32 s42, 0x5d8e7cdc
	s_mov_b32 s45, 0xbfeb34fa
	s_mov_b32 s43, 0xbfd71e95
	v_add_f64 v[4:5], v[12:13], v[4:5]
	v_add_f64 v[8:9], v[16:17], v[8:9]
	v_fma_f64 v[12:13], v[52:53], s[44:45], v[110:111]
	v_fma_f64 v[16:17], v[52:53], s[16:17], v[108:109]
	v_add_f64 v[28:29], v[30:31], v[50:51]
	v_mul_f64 v[60:61], v[48:49], s[50:51]
	v_mul_f64 v[64:65], v[48:49], s[42:43]
	v_add_f64 v[24:25], v[44:45], -v[32:33]
	s_mov_b32 s40, 0x370991
	s_mov_b32 s41, 0x3fedd6d0
	s_mov_b32 s37, 0x3feca52d
	s_mov_b32 s36, s38
	v_add_f64 v[4:5], v[12:13], v[4:5]
	v_add_f64 v[16:17], v[16:17], v[8:9]
	v_fma_f64 v[20:21], v[28:29], s[22:23], v[60:61]
	v_fma_f64 v[96:97], v[28:29], s[40:41], v[64:65]
	v_add_f64 v[12:13], v[34:35], v[46:47]
	v_mul_f64 v[32:33], v[24:25], s[36:37]
	v_mul_f64 v[44:45], v[24:25], s[6:7]
	v_add_f64 v[8:9], v[40:41], -v[36:37]
	s_mov_b32 s49, 0x3fd71e95
	s_mov_b32 s48, s42
	s_mov_b32 s47, 0xbfe0d888
	s_mov_b32 s46, s52
	v_add_f64 v[36:37], v[20:21], v[4:5]
	v_add_f64 v[40:41], v[96:97], v[16:17]
	v_fma_f64 v[96:97], v[12:13], s[4:5], v[32:33]
	v_fma_f64 v[98:99], v[12:13], s[10:11], v[44:45]
	v_add_f64 v[4:5], v[38:39], v[42:43]
	v_mul_f64 v[16:17], v[8:9], s[48:49]
	v_mul_f64 v[20:21], v[8:9], s[46:47]
	s_waitcnt lgkmcnt(0)
	s_barrier
	v_add_f64 v[36:37], v[96:97], v[36:37]
	v_add_f64 v[40:41], v[98:99], v[40:41]
	v_fma_f64 v[96:97], v[4:5], s[40:41], v[16:17]
	v_fma_f64 v[143:144], v[4:5], s[44:45], v[20:21]
	v_add_f64 v[98:99], v[96:97], v[36:37]
	v_add_f64 v[96:97], v[143:144], v[40:41]
	s_and_saveexec_b64 s[24:25], s[0:1]
	s_cbranch_execz .LBB0_16
; %bb.15:
	v_add_f64 v[36:37], v[70:71], v[26:27]
	v_mul_f64 v[40:41], v[112:113], s[16:17]
	v_mul_f64 v[70:71], v[112:113], s[4:5]
	;; [unrolled: 1-line block ×4, first 2 shown]
	s_mov_b32 s1, 0xbfeec746
	s_mov_b32 s0, s50
	v_mul_f64 v[143:144], v[124:125], s[10:11]
	v_add_f64 v[36:37], v[66:67], v[36:37]
	v_mul_f64 v[145:146], v[124:125], s[18:19]
	v_mul_f64 v[147:148], v[114:115], s[18:19]
	;; [unrolled: 1-line block ×7, first 2 shown]
	v_add_f64 v[36:37], v[62:63], v[36:37]
	v_mul_f64 v[188:189], v[116:117], s[50:51]
	v_mul_f64 v[190:191], v[116:117], s[34:35]
	v_add_f64 v[40:41], v[40:41], -v[126:127]
	v_add_f64 v[70:71], v[70:71], -v[128:129]
	v_fma_f64 v[126:127], v[112:113], s[10:11], -v[172:173]
	v_fma_f64 v[128:129], v[112:113], s[10:11], v[172:173]
	v_mul_f64 v[182:183], v[138:139], s[52:53]
	v_add_f64 v[36:37], v[58:59], v[36:37]
	v_mul_f64 v[58:59], v[122:123], s[46:47]
	v_mul_f64 v[122:123], v[122:123], s[0:1]
	;; [unrolled: 1-line block ×4, first 2 shown]
	v_fma_f64 v[172:173], v[112:113], s[18:19], -v[174:175]
	v_fma_f64 v[196:197], v[112:113], s[26:27], -v[176:177]
	v_fma_f64 v[176:177], v[112:113], s[26:27], v[176:177]
	v_add_f64 v[36:37], v[54:55], v[36:37]
	v_mul_f64 v[54:55], v[138:139], s[48:49]
	v_mul_f64 v[138:139], v[116:117], s[38:39]
	v_fma_f64 v[198:199], v[124:125], s[16:17], -v[178:179]
	v_fma_f64 v[178:179], v[124:125], s[16:17], v[178:179]
	v_add_f64 v[40:41], v[26:27], v[40:41]
	v_add_f64 v[70:71], v[26:27], v[70:71]
	v_mul_f64 v[192:193], v[116:117], s[42:43]
	v_add_f64 v[36:37], v[50:51], v[36:37]
	v_fma_f64 v[50:51], v[112:113], s[40:41], -v[170:171]
	v_fma_f64 v[170:171], v[112:113], s[40:41], v[170:171]
	v_fma_f64 v[200:201], v[124:125], s[40:41], -v[54:55]
	v_fma_f64 v[54:55], v[124:125], s[40:41], v[54:55]
	v_mul_f64 v[66:67], v[68:69], s[22:23]
	v_mul_f64 v[194:195], v[116:117], s[6:7]
	;; [unrolled: 1-line block ×3, first 2 shown]
	v_add_f64 v[36:37], v[46:47], v[36:37]
	v_fma_f64 v[46:47], v[112:113], s[18:19], v[174:175]
	v_fma_f64 v[174:175], v[112:113], s[44:45], -v[58:59]
	v_fma_f64 v[58:59], v[112:113], s[44:45], v[58:59]
	v_add_f64 v[50:51], v[26:27], v[50:51]
	v_mul_f64 v[156:157], v[52:53], s[44:45]
	v_mul_f64 v[158:159], v[52:53], s[16:17]
	v_add_f64 v[118:119], v[154:155], -v[118:119]
	v_add_f64 v[36:37], v[42:43], v[36:37]
	v_add_f64 v[42:43], v[143:144], -v[130:131]
	v_add_f64 v[130:131], v[145:146], -v[134:135]
	v_fma_f64 v[134:135], v[124:125], s[26:27], -v[180:181]
	v_fma_f64 v[143:144], v[124:125], s[26:27], v[180:181]
	v_fma_f64 v[145:146], v[124:125], s[44:45], -v[182:183]
	v_fma_f64 v[180:181], v[124:125], s[44:45], v[182:183]
	v_fma_f64 v[182:183], v[124:125], s[22:23], -v[184:185]
	v_add_f64 v[36:37], v[38:39], v[36:37]
	v_fma_f64 v[38:39], v[124:125], s[22:23], v[184:185]
	v_fma_f64 v[184:185], v[124:125], s[4:5], -v[186:187]
	v_fma_f64 v[186:187], v[124:125], s[4:5], v[186:187]
	v_fma_f64 v[124:125], v[114:115], s[4:5], -v[138:139]
	v_fma_f64 v[138:139], v[114:115], s[4:5], v[138:139]
	v_add_f64 v[46:47], v[26:27], v[46:47]
	v_add_f64 v[58:59], v[26:27], v[58:59]
	;; [unrolled: 1-line block ×3, first 2 shown]
	v_add_f64 v[36:37], v[147:148], -v[132:133]
	v_add_f64 v[132:133], v[152:153], -v[136:137]
	v_fma_f64 v[136:137], v[114:115], s[22:23], -v[188:189]
	v_fma_f64 v[147:148], v[114:115], s[22:23], v[188:189]
	v_fma_f64 v[152:153], v[114:115], s[16:17], -v[190:191]
	v_fma_f64 v[188:189], v[114:115], s[16:17], v[190:191]
	v_fma_f64 v[190:191], v[112:113], s[22:23], -v[122:123]
	v_add_f64 v[30:31], v[30:31], v[34:35]
	v_fma_f64 v[34:35], v[112:113], s[22:23], v[122:123]
	v_add_f64 v[112:113], v[26:27], v[170:171]
	v_add_f64 v[122:123], v[26:27], v[126:127]
	;; [unrolled: 1-line block ×12, first 2 shown]
	v_mul_f64 v[160:161], v[28:29], s[22:23]
	v_mul_f64 v[162:163], v[28:29], s[40:41]
	v_add_f64 v[18:19], v[18:19], v[22:23]
	v_add_f64 v[22:23], v[26:27], v[34:35]
	;; [unrolled: 1-line block ×7, first 2 shown]
	v_fma_f64 v[122:123], v[114:115], s[10:11], v[194:195]
	v_add_f64 v[10:11], v[10:11], v[18:19]
	v_add_f64 v[18:19], v[182:183], v[30:31]
	;; [unrolled: 1-line block ×7, first 2 shown]
	v_add_f64 v[64:65], v[162:163], -v[64:65]
	v_add_f64 v[10:11], v[14:15], v[10:11]
	v_add_f64 v[14:15], v[180:181], v[22:23]
	;; [unrolled: 1-line block ×9, first 2 shown]
	v_fma_f64 v[10:11], v[114:115], s[40:41], -v[192:193]
	v_fma_f64 v[50:51], v[114:115], s[40:41], v[192:193]
	v_mul_f64 v[70:71], v[116:117], s[46:47]
	v_mul_f64 v[124:125], v[106:107], s[6:7]
	v_fma_f64 v[116:117], v[114:115], s[10:11], -v[194:195]
	v_add_f64 v[14:15], v[188:189], v[14:15]
	v_add_f64 v[34:35], v[118:119], v[34:35]
	s_mov_b32 s7, 0x3fefdd0d
	v_add_f64 v[10:11], v[10:11], v[18:19]
	v_add_f64 v[18:19], v[50:51], v[30:31]
	v_fma_f64 v[30:31], v[114:115], s[44:45], -v[70:71]
	v_fma_f64 v[50:51], v[114:115], s[44:45], v[70:71]
	v_mul_f64 v[70:71], v[106:107], s[48:49]
	v_fma_f64 v[114:115], v[68:69], s[10:11], -v[124:125]
	s_mov_b32 s49, 0x3fe9895b
	s_mov_b32 s48, s20
	v_add_f64 v[38:39], v[116:117], v[38:39]
	v_fma_f64 v[116:117], v[68:69], s[10:11], v[124:125]
	v_add_f64 v[30:31], v[30:31], v[58:59]
	v_add_f64 v[58:59], v[66:67], -v[120:121]
	v_add_f64 v[50:51], v[50:51], v[54:55]
	v_fma_f64 v[54:55], v[68:69], s[40:41], -v[70:71]
	v_mul_f64 v[66:67], v[106:107], s[38:39]
	v_fma_f64 v[70:71], v[68:69], s[40:41], v[70:71]
	v_add_f64 v[22:23], v[114:115], v[22:23]
	v_mul_f64 v[114:115], v[106:107], s[48:49]
	v_add_f64 v[26:27], v[116:117], v[26:27]
	v_add_f64 v[36:37], v[58:59], v[36:37]
	v_mul_f64 v[58:59], v[106:107], s[46:47]
	v_add_f64 v[40:41], v[54:55], v[40:41]
	v_fma_f64 v[54:55], v[68:69], s[4:5], -v[66:67]
	v_add_f64 v[42:43], v[70:71], v[42:43]
	v_fma_f64 v[66:67], v[68:69], s[4:5], v[66:67]
	v_mul_f64 v[106:107], v[106:107], s[34:35]
	v_fma_f64 v[116:117], v[68:69], s[18:19], -v[114:115]
	v_fma_f64 v[114:115], v[68:69], s[18:19], v[114:115]
	v_fma_f64 v[70:71], v[68:69], s[44:45], -v[58:59]
	v_fma_f64 v[58:59], v[68:69], s[44:45], v[58:59]
	v_add_f64 v[54:55], v[54:55], v[112:113]
	v_mul_f64 v[112:113], v[56:57], s[0:1]
	v_add_f64 v[14:15], v[66:67], v[14:15]
	v_fma_f64 v[66:67], v[68:69], s[16:17], -v[106:107]
	v_mul_f64 v[164:165], v[12:13], s[4:5]
	v_mul_f64 v[166:167], v[12:13], s[10:11]
	v_add_f64 v[10:11], v[70:71], v[10:11]
	v_add_f64 v[18:19], v[58:59], v[18:19]
	v_fma_f64 v[58:59], v[68:69], s[16:17], v[106:107]
	v_fma_f64 v[68:69], v[52:53], s[22:23], -v[112:113]
	v_fma_f64 v[70:71], v[52:53], s[22:23], v[112:113]
	v_mul_f64 v[106:107], v[56:57], s[38:39]
	v_add_f64 v[30:31], v[66:67], v[30:31]
	v_add_f64 v[66:67], v[156:157], -v[110:111]
	v_add_f64 v[46:47], v[122:123], v[46:47]
	v_add_f64 v[38:39], v[116:117], v[38:39]
	;; [unrolled: 1-line block ×3, first 2 shown]
	v_mul_f64 v[58:59], v[56:57], s[28:29]
	v_add_f64 v[22:23], v[68:69], v[22:23]
	v_add_f64 v[68:69], v[158:159], -v[108:109]
	v_add_f64 v[26:27], v[70:71], v[26:27]
	v_fma_f64 v[70:71], v[52:53], s[4:5], -v[106:107]
	v_add_f64 v[34:35], v[66:67], v[34:35]
	v_mul_f64 v[66:67], v[56:57], s[6:7]
	v_fma_f64 v[106:107], v[52:53], s[4:5], v[106:107]
	v_fma_f64 v[108:109], v[52:53], s[26:27], -v[58:59]
	v_fma_f64 v[58:59], v[52:53], s[26:27], v[58:59]
	v_add_f64 v[36:37], v[68:69], v[36:37]
	v_mul_f64 v[68:69], v[56:57], s[42:43]
	v_add_f64 v[40:41], v[70:71], v[40:41]
	v_mul_f64 v[56:57], v[56:57], s[20:21]
	v_fma_f64 v[70:71], v[52:53], s[10:11], -v[66:67]
	v_fma_f64 v[66:67], v[52:53], s[10:11], v[66:67]
	v_add_f64 v[54:55], v[108:109], v[54:55]
	v_mul_f64 v[108:109], v[48:49], s[20:21]
	v_add_f64 v[42:43], v[106:107], v[42:43]
	v_fma_f64 v[106:107], v[52:53], s[40:41], -v[68:69]
	v_fma_f64 v[68:69], v[52:53], s[40:41], v[68:69]
	v_add_f64 v[14:15], v[58:59], v[14:15]
	v_fma_f64 v[58:59], v[52:53], s[18:19], -v[56:57]
	v_fma_f64 v[52:53], v[52:53], s[18:19], v[56:57]
	v_add_f64 v[18:19], v[66:67], v[18:19]
	v_fma_f64 v[56:57], v[28:29], s[18:19], -v[108:109]
	v_mul_f64 v[66:67], v[48:49], s[46:47]
	v_add_f64 v[36:37], v[64:65], v[36:37]
	v_mul_f64 v[64:65], v[48:49], s[28:29]
	v_add_f64 v[32:33], v[164:165], -v[32:33]
	v_add_f64 v[30:31], v[58:59], v[30:31]
	v_fma_f64 v[58:59], v[28:29], s[18:19], v[108:109]
	v_add_f64 v[50:51], v[52:53], v[50:51]
	v_add_f64 v[52:53], v[160:161], -v[60:61]
	v_mul_f64 v[60:61], v[48:49], s[6:7]
	v_add_f64 v[22:23], v[56:57], v[22:23]
	v_fma_f64 v[56:57], v[28:29], s[44:45], -v[66:67]
	v_fma_f64 v[66:67], v[28:29], s[44:45], v[66:67]
	v_add_f64 v[44:45], v[166:167], -v[44:45]
	v_add_f64 v[26:27], v[58:59], v[26:27]
	v_mul_f64 v[58:59], v[48:49], s[30:31]
	v_add_f64 v[34:35], v[52:53], v[34:35]
	v_fma_f64 v[52:53], v[28:29], s[10:11], -v[60:61]
	v_mul_f64 v[48:49], v[48:49], s[36:37]
	v_add_f64 v[40:41], v[56:57], v[40:41]
	v_fma_f64 v[56:57], v[28:29], s[10:11], v[60:61]
	v_add_f64 v[42:43], v[66:67], v[42:43]
	v_mul_f64 v[66:67], v[24:25], s[46:47]
	v_fma_f64 v[60:61], v[28:29], s[16:17], -v[58:59]
	v_add_f64 v[46:47], v[114:115], v[46:47]
	v_add_f64 v[52:53], v[52:53], v[54:55]
	v_fma_f64 v[54:55], v[28:29], s[16:17], v[58:59]
	v_fma_f64 v[58:59], v[28:29], s[26:27], -v[64:65]
	v_fma_f64 v[64:65], v[28:29], s[26:27], v[64:65]
	v_add_f64 v[14:15], v[56:57], v[14:15]
	v_fma_f64 v[56:57], v[28:29], s[4:5], -v[48:49]
	v_fma_f64 v[28:29], v[28:29], s[4:5], v[48:49]
	v_fma_f64 v[48:49], v[12:13], s[44:45], -v[66:67]
	v_add_f64 v[38:39], v[106:107], v[38:39]
	v_add_f64 v[18:19], v[54:55], v[18:19]
	v_mul_f64 v[54:55], v[24:25], s[48:49]
	v_add_f64 v[32:33], v[32:33], v[34:35]
	v_add_f64 v[34:35], v[44:45], v[36:37]
	v_mul_f64 v[44:45], v[24:25], s[34:35]
	v_add_f64 v[28:29], v[28:29], v[50:51]
	v_mul_f64 v[50:51], v[24:25], s[42:43]
	v_add_f64 v[22:23], v[48:49], v[22:23]
	v_add_f64 v[30:31], v[56:57], v[30:31]
	v_fma_f64 v[48:49], v[12:13], s[18:19], -v[54:55]
	v_mul_f64 v[56:57], v[24:25], s[28:29]
	v_fma_f64 v[54:55], v[12:13], s[18:19], v[54:55]
	v_add_f64 v[46:47], v[68:69], v[46:47]
	v_add_f64 v[38:39], v[58:59], v[38:39]
	v_fma_f64 v[36:37], v[12:13], s[40:41], -v[50:51]
	v_mul_f64 v[24:25], v[24:25], s[0:1]
	v_mul_f64 v[62:63], v[4:5], s[40:41]
	v_add_f64 v[40:41], v[48:49], v[40:41]
	v_fma_f64 v[48:49], v[12:13], s[40:41], v[50:51]
	v_mul_f64 v[168:169], v[4:5], s[44:45]
	v_fma_f64 v[50:51], v[12:13], s[26:27], -v[56:57]
	v_add_f64 v[42:43], v[54:55], v[42:43]
	v_add_f64 v[36:37], v[36:37], v[52:53]
	v_fma_f64 v[52:53], v[12:13], s[16:17], -v[44:45]
	v_fma_f64 v[54:55], v[12:13], s[26:27], v[56:57]
	v_mul_f64 v[56:57], v[8:9], s[28:29]
	v_add_f64 v[10:11], v[70:71], v[10:11]
	v_add_f64 v[46:47], v[64:65], v[46:47]
	v_fma_f64 v[58:59], v[12:13], s[44:45], v[66:67]
	v_add_f64 v[14:15], v[48:49], v[14:15]
	v_fma_f64 v[44:45], v[12:13], s[16:17], v[44:45]
	v_fma_f64 v[48:49], v[12:13], s[22:23], -v[24:25]
	v_fma_f64 v[12:13], v[12:13], s[22:23], v[24:25]
	v_add_f64 v[24:25], v[52:53], v[38:39]
	v_mul_f64 v[52:53], v[8:9], s[34:35]
	v_fma_f64 v[38:39], v[4:5], s[26:27], -v[56:57]
	v_add_f64 v[16:17], v[62:63], -v[16:17]
	v_add_f64 v[20:21], v[168:169], -v[20:21]
	v_add_f64 v[10:11], v[60:61], v[10:11]
	v_add_f64 v[44:45], v[44:45], v[46:47]
	;; [unrolled: 1-line block ×3, first 2 shown]
	v_mul_f64 v[46:47], v[8:9], s[20:21]
	v_fma_f64 v[28:29], v[4:5], s[16:17], -v[52:53]
	v_add_f64 v[22:23], v[38:39], v[22:23]
	v_fma_f64 v[38:39], v[4:5], s[16:17], v[52:53]
	v_add_f64 v[16:17], v[16:17], v[32:33]
	v_mul_f64 v[32:33], v[8:9], s[36:37]
	v_add_f64 v[20:21], v[20:21], v[34:35]
	v_mul_f64 v[34:35], v[8:9], s[0:1]
	v_add_f64 v[26:27], v[58:59], v[26:27]
	v_add_f64 v[10:11], v[50:51], v[10:11]
	v_fma_f64 v[50:51], v[4:5], s[26:27], v[56:57]
	v_mul_f64 v[8:9], v[8:9], s[6:7]
	v_add_f64 v[28:29], v[28:29], v[40:41]
	v_fma_f64 v[40:41], v[4:5], s[18:19], -v[46:47]
	v_add_f64 v[30:31], v[48:49], v[30:31]
	v_add_f64 v[38:39], v[38:39], v[42:43]
	v_fma_f64 v[42:43], v[4:5], s[18:19], v[46:47]
	v_fma_f64 v[46:47], v[4:5], s[4:5], -v[32:33]
	v_fma_f64 v[48:49], v[4:5], s[22:23], -v[34:35]
	v_add_f64 v[26:27], v[50:51], v[26:27]
	v_fma_f64 v[50:51], v[4:5], s[10:11], -v[8:9]
	v_fma_f64 v[8:9], v[4:5], s[10:11], v[8:9]
	v_add_f64 v[18:19], v[54:55], v[18:19]
	v_fma_f64 v[32:33], v[4:5], s[4:5], v[32:33]
	v_fma_f64 v[4:5], v[4:5], s[22:23], v[34:35]
	v_add_f64 v[34:35], v[40:41], v[36:37]
	v_add_f64 v[10:11], v[46:47], v[10:11]
	;; [unrolled: 1-line block ×8, first 2 shown]
	v_lshlrev_b32_e32 v12, 7, v150
	v_add3_u32 v12, v142, v12, v151
	ds_write2_b64 v12, v[6:7], v[22:23] offset1:1
	ds_write2_b64 v12, v[16:17], v[20:21] offset0:2 offset1:3
	ds_write2_b64 v12, v[28:29], v[34:35] offset0:4 offset1:5
	;; [unrolled: 1-line block ×7, first 2 shown]
	ds_write_b64 v12, v[26:27] offset:128
.LBB0_16:
	s_or_b64 exec, exec, s[24:25]
	v_add_u32_e32 v4, 0x400, v141
	v_add_u32_e32 v12, 0x800, v141
	s_waitcnt lgkmcnt(0)
	s_barrier
	ds_read2_b64 v[16:19], v4 offset0:127 offset1:161
	ds_read2_b64 v[4:7], v141 offset0:34 offset1:68
	;; [unrolled: 1-line block ×6, first 2 shown]
	ds_read_b64 v[60:61], v140
	ds_read_b64 v[62:63], v141 offset:3672
	s_and_saveexec_b64 s[0:1], s[2:3]
	s_cbranch_execz .LBB0_18
; %bb.17:
	v_add_u32_e32 v28, 0x770, v141
	ds_read2_b64 v[96:99], v28 offset1:255
.LBB0_18:
	s_or_b64 exec, exec, s[0:1]
	v_subrev_u32_e32 v28, 17, v150
	v_cndmask_b32_e64 v69, v28, v150, s[2:3]
	v_mov_b32_e32 v70, 0
	v_lshlrev_b64 v[28:29], 4, v[69:70]
	v_mov_b32_e32 v30, s9
	v_add_co_u32_e64 v36, s[0:1], s8, v28
	v_addc_co_u32_e64 v37, s[0:1], v30, v29, s[0:1]
	v_add_u32_e32 v65, 34, v150
	s_movk_i32 s0, 0xf1
	v_mul_lo_u16_sdwa v28, v65, s0 dst_sel:DWORD dst_unused:UNUSED_PAD src0_sel:BYTE_0 src1_sel:DWORD
	v_lshrrev_b16_e32 v70, 12, v28
	v_mul_lo_u16_e32 v28, 17, v70
	v_add_u32_e32 v64, 0x44, v150
	v_sub_u16_e32 v71, v65, v28
	v_mov_b32_e32 v44, 4
	v_lshlrev_b32_sdwa v38, v44, v71 dst_sel:DWORD dst_unused:UNUSED_PAD src0_sel:DWORD src1_sel:BYTE_0
	global_load_dwordx4 v[28:31], v[36:37], off
	global_load_dwordx4 v[32:35], v38, s[8:9]
	v_mul_lo_u16_sdwa v36, v64, s0 dst_sel:DWORD dst_unused:UNUSED_PAD src0_sel:BYTE_0 src1_sel:DWORD
	v_lshrrev_b16_e32 v106, 12, v36
	v_add_u32_e32 v67, 0x66, v150
	v_mul_lo_u16_e32 v36, 17, v106
	v_sub_u16_e32 v107, v64, v36
	v_mul_lo_u16_sdwa v36, v67, s0 dst_sel:DWORD dst_unused:UNUSED_PAD src0_sel:BYTE_0 src1_sel:DWORD
	v_lshrrev_b16_e32 v108, 12, v36
	v_mul_lo_u16_e32 v36, 17, v108
	v_sub_u16_e32 v109, v67, v36
	v_lshlrev_b32_sdwa v45, v44, v107 dst_sel:DWORD dst_unused:UNUSED_PAD src0_sel:DWORD src1_sel:BYTE_0
	v_lshlrev_b32_sdwa v46, v44, v109 dst_sel:DWORD dst_unused:UNUSED_PAD src0_sel:DWORD src1_sel:BYTE_0
	v_add_u16_e32 v68, 0x88, v150
	global_load_dwordx4 v[36:39], v45, s[8:9]
	global_load_dwordx4 v[40:43], v46, s[8:9]
	v_mul_lo_u16_sdwa v45, v68, s0 dst_sel:DWORD dst_unused:UNUSED_PAD src0_sel:BYTE_0 src1_sel:DWORD
	v_add_u16_e32 v46, 0xaa, v150
	v_lshrrev_b16_e32 v110, 12, v45
	v_mul_lo_u16_sdwa v47, v46, s0 dst_sel:DWORD dst_unused:UNUSED_PAD src0_sel:BYTE_0 src1_sel:DWORD
	v_mul_lo_u16_e32 v45, 17, v110
	v_lshrrev_b16_e32 v112, 12, v47
	v_sub_u16_e32 v111, v68, v45
	v_mul_lo_u16_e32 v47, 17, v112
	v_add_u32_e32 v66, 0xcc, v150
	v_lshlrev_b32_sdwa v45, v44, v111 dst_sel:DWORD dst_unused:UNUSED_PAD src0_sel:DWORD src1_sel:BYTE_0
	v_sub_u16_e32 v124, v46, v47
	v_lshlrev_b32_sdwa v46, v44, v124 dst_sel:DWORD dst_unused:UNUSED_PAD src0_sel:DWORD src1_sel:BYTE_0
	global_load_dwordx4 v[48:51], v45, s[8:9]
	global_load_dwordx4 v[52:55], v46, s[8:9]
	v_mul_lo_u16_sdwa v45, v66, s0 dst_sel:DWORD dst_unused:UNUSED_PAD src0_sel:BYTE_0 src1_sel:DWORD
	v_lshrrev_b16_e32 v125, 12, v45
	v_mul_lo_u16_e32 v45, 17, v125
	v_sub_u16_e32 v126, v66, v45
	v_lshlrev_b32_sdwa v44, v44, v126 dst_sel:DWORD dst_unused:UNUSED_PAD src0_sel:DWORD src1_sel:BYTE_0
	global_load_dwordx4 v[56:59], v44, s[8:9]
	v_add_u32_e32 v44, 0xee, v150
	s_mov_b32 s0, 0xf0f1
	v_mul_u32_u24_sdwa v45, v44, s0 dst_sel:DWORD dst_unused:UNUSED_PAD src0_sel:WORD_0 src1_sel:DWORD
	v_lshrrev_b32_e32 v45, 20, v45
	v_mul_lo_u16_e32 v45, 17, v45
	v_sub_u16_e32 v127, v44, v45
	v_lshlrev_b32_e32 v44, 4, v127
	global_load_dwordx4 v[44:47], v44, s[8:9]
	s_movk_i32 s4, 0x110
	v_mov_b32_e32 v113, 0x110
	v_mov_b32_e32 v128, 3
	v_cmp_lt_u32_e64 s[0:1], 16, v150
	v_cndmask_b32_e64 v113, 0, v113, s[0:1]
	v_mad_u32_u24 v120, v106, s4, 0
	v_lshlrev_b32_sdwa v121, v128, v107 dst_sel:DWORD dst_unused:UNUSED_PAD src0_sel:DWORD src1_sel:BYTE_0
	v_add_u32_e32 v113, 0, v113
	v_lshlrev_b32_e32 v69, 3, v69
	v_mad_u32_u24 v122, v108, s4, 0
	v_lshlrev_b32_sdwa v123, v128, v109 dst_sel:DWORD dst_unused:UNUSED_PAD src0_sel:DWORD src1_sel:BYTE_0
	v_add3_u32 v69, v113, v69, v151
	v_mad_u32_u24 v129, v110, s4, 0
	v_mad_u32_u24 v130, v112, s4, 0
	v_lshlrev_b32_sdwa v131, v128, v111 dst_sel:DWORD dst_unused:UNUSED_PAD src0_sel:DWORD src1_sel:BYTE_0
	v_mad_u32_u24 v70, v70, s4, 0
	v_lshlrev_b32_sdwa v71, v128, v71 dst_sel:DWORD dst_unused:UNUSED_PAD src0_sel:DWORD src1_sel:BYTE_0
	v_add3_u32 v70, v70, v71, v151
	v_add3_u32 v71, v120, v121, v151
	s_waitcnt vmcnt(0) lgkmcnt(0)
	s_barrier
	v_mul_f64 v[106:107], v[16:17], v[30:31]
	v_mul_f64 v[108:109], v[18:19], v[34:35]
	v_fma_f64 v[106:107], v[80:81], v[28:29], v[106:107]
	v_fma_f64 v[108:109], v[82:83], v[32:33], v[108:109]
	v_mul_f64 v[110:111], v[20:21], v[38:39]
	v_mul_f64 v[112:113], v[22:23], v[42:43]
	v_add_f64 v[120:121], v[104:105], -v[106:107]
	v_add_f64 v[107:108], v[84:85], -v[108:109]
	v_add3_u32 v106, v122, v123, v151
	v_fma_f64 v[110:111], v[76:77], v[36:37], v[110:111]
	v_fma_f64 v[112:113], v[78:79], v[40:41], v[112:113]
	v_fma_f64 v[104:105], v[104:105], 2.0, -v[120:121]
	v_fma_f64 v[122:123], v[84:85], 2.0, -v[107:108]
	v_mul_f64 v[114:115], v[24:25], v[50:51]
	v_mul_f64 v[116:117], v[26:27], v[54:55]
	v_add3_u32 v84, v129, v131, v151
	v_add_f64 v[109:110], v[86:87], -v[110:111]
	v_add_f64 v[111:112], v[92:93], -v[112:113]
	v_mul_f64 v[118:119], v[62:63], v[58:59]
	v_fma_f64 v[114:115], v[72:73], v[48:49], v[114:115]
	v_fma_f64 v[116:117], v[74:75], v[52:53], v[116:117]
	v_fma_f64 v[85:86], v[86:87], 2.0, -v[109:110]
	v_fma_f64 v[92:93], v[92:93], 2.0, -v[111:112]
	v_fma_f64 v[118:119], v[102:103], v[56:57], v[118:119]
	v_add_f64 v[113:114], v[94:95], -v[114:115]
	v_add_f64 v[115:116], v[88:89], -v[116:117]
	;; [unrolled: 1-line block ×3, first 2 shown]
	v_fma_f64 v[94:95], v[94:95], 2.0, -v[113:114]
	v_fma_f64 v[87:88], v[88:89], 2.0, -v[115:116]
	ds_write2_b64 v69, v[104:105], v[120:121] offset1:17
	ds_write2_b64 v70, v[122:123], v[107:108] offset1:17
	;; [unrolled: 1-line block ×5, first 2 shown]
	v_lshlrev_b32_sdwa v85, v128, v124 dst_sel:DWORD dst_unused:UNUSED_PAD src0_sel:DWORD src1_sel:BYTE_0
	v_add3_u32 v86, v130, v85, v151
	v_fma_f64 v[89:90], v[90:91], 2.0, -v[117:118]
	v_mad_u32_u24 v85, v125, s4, 0
	ds_write2_b64 v86, v[87:88], v[115:116] offset1:17
	v_lshlrev_b32_sdwa v87, v128, v126 dst_sel:DWORD dst_unused:UNUSED_PAD src0_sel:DWORD src1_sel:BYTE_0
	v_add3_u32 v87, v85, v87, v151
	v_lshlrev_b32_e32 v85, 3, v127
	ds_write2_b64 v87, v[89:90], v[117:118] offset1:17
	s_and_saveexec_b64 s[0:1], s[2:3]
	s_cbranch_execz .LBB0_20
; %bb.19:
	v_mul_f64 v[88:89], v[98:99], v[46:47]
	v_add3_u32 v90, 0, v85, v151
	v_add_u32_e32 v90, 0x800, v90
	v_fma_f64 v[88:89], v[2:3], v[44:45], v[88:89]
	v_add_f64 v[88:89], v[0:1], -v[88:89]
	v_fma_f64 v[0:1], v[0:1], 2.0, -v[88:89]
	ds_write2_b64 v90, v[0:1], v[88:89] offset0:220 offset1:237
.LBB0_20:
	s_or_b64 exec, exec, s[0:1]
	v_mul_f64 v[0:1], v[80:81], v[30:31]
	v_mul_f64 v[30:31], v[82:83], v[34:35]
	;; [unrolled: 1-line block ×7, first 2 shown]
	s_waitcnt lgkmcnt(0)
	v_fma_f64 v[0:1], v[16:17], v[28:29], -v[0:1]
	v_fma_f64 v[16:17], v[18:19], v[32:33], -v[30:31]
	;; [unrolled: 1-line block ×7, first 2 shown]
	v_add_u32_e32 v34, 0x800, v141
	v_add_f64 v[32:33], v[60:61], -v[0:1]
	v_add_f64 v[36:37], v[4:5], -v[16:17]
	;; [unrolled: 1-line block ×7, first 2 shown]
	v_add_u32_e32 v35, 0x400, v141
	v_fma_f64 v[52:53], v[60:61], 2.0, -v[32:33]
	v_fma_f64 v[54:55], v[4:5], 2.0, -v[36:37]
	;; [unrolled: 1-line block ×7, first 2 shown]
	s_barrier
	ds_read_b64 v[0:1], v140
	ds_read2_b64 v[28:31], v141 offset0:170 offset1:204
	ds_read2_b64 v[12:15], v34 offset0:50 offset1:84
	;; [unrolled: 1-line block ×7, first 2 shown]
	s_waitcnt lgkmcnt(0)
	s_barrier
	ds_write2_b64 v69, v[52:53], v[32:33] offset1:17
	ds_write2_b64 v70, v[54:55], v[36:37] offset1:17
	;; [unrolled: 1-line block ×7, first 2 shown]
	s_and_saveexec_b64 s[0:1], s[2:3]
	s_cbranch_execz .LBB0_22
; %bb.21:
	v_mul_f64 v[2:3], v[2:3], v[46:47]
	v_add3_u32 v36, 0, v85, v151
	v_add_u32_e32 v36, 0x800, v36
	v_fma_f64 v[2:3], v[98:99], v[44:45], -v[2:3]
	v_add_f64 v[2:3], v[96:97], -v[2:3]
	v_fma_f64 v[32:33], v[96:97], 2.0, -v[2:3]
	ds_write2_b64 v36, v[32:33], v[2:3] offset0:220 offset1:237
.LBB0_22:
	s_or_b64 exec, exec, s[0:1]
	v_lshlrev_b32_e32 v32, 1, v150
	v_mov_b32_e32 v33, 0
	v_lshlrev_b64 v[2:3], 4, v[32:33]
	v_mov_b32_e32 v32, s9
	v_add_co_u32_e64 v2, s[0:1], s8, v2
	v_addc_co_u32_e64 v3, s[0:1], v32, v3, s[0:1]
	s_movk_i32 s0, 0xf1
	s_waitcnt lgkmcnt(0)
	s_barrier
	global_load_dwordx4 v[36:39], v[2:3], off offset:288
	global_load_dwordx4 v[40:43], v[2:3], off offset:272
	v_mul_lo_u16_sdwa v2, v64, s0 dst_sel:DWORD dst_unused:UNUSED_PAD src0_sel:BYTE_0 src1_sel:DWORD
	v_lshrrev_b16_e32 v2, 13, v2
	v_mul_lo_u16_e32 v2, 34, v2
	v_sub_u16_e32 v32, v64, v2
	v_mov_b32_e32 v2, 5
	v_lshlrev_b32_sdwa v3, v2, v32 dst_sel:DWORD dst_unused:UNUSED_PAD src0_sel:DWORD src1_sel:BYTE_0
	global_load_dwordx4 v[44:47], v3, s[8:9] offset:288
	global_load_dwordx4 v[48:51], v3, s[8:9] offset:272
	v_mul_lo_u16_sdwa v3, v67, s0 dst_sel:DWORD dst_unused:UNUSED_PAD src0_sel:BYTE_0 src1_sel:DWORD
	v_lshrrev_b16_e32 v3, 13, v3
	v_mul_lo_u16_e32 v3, 34, v3
	v_sub_u16_e32 v126, v67, v3
	v_lshlrev_b32_sdwa v3, v2, v126 dst_sel:DWORD dst_unused:UNUSED_PAD src0_sel:DWORD src1_sel:BYTE_0
	global_load_dwordx4 v[52:55], v3, s[8:9] offset:288
	global_load_dwordx4 v[56:59], v3, s[8:9] offset:272
	v_mul_lo_u16_sdwa v3, v68, s0 dst_sel:DWORD dst_unused:UNUSED_PAD src0_sel:BYTE_0 src1_sel:DWORD
	v_lshrrev_b16_e32 v3, 13, v3
	v_mul_lo_u16_e32 v3, 34, v3
	v_sub_u16_e32 v127, v68, v3
	v_lshlrev_b32_sdwa v2, v2, v127 dst_sel:DWORD dst_unused:UNUSED_PAD src0_sel:DWORD src1_sel:BYTE_0
	global_load_dwordx4 v[60:63], v2, s[8:9] offset:272
	global_load_dwordx4 v[68:71], v2, s[8:9] offset:288
	ds_read_b64 v[2:3], v140
	ds_read2_b64 v[72:75], v141 offset0:170 offset1:204
	ds_read2_b64 v[76:79], v34 offset0:50 offset1:84
	;; [unrolled: 1-line block ×7, first 2 shown]
	s_mov_b32 s0, 0xe8584caa
	s_mov_b32 s1, 0xbfebb67a
	;; [unrolled: 1-line block ×4, first 2 shown]
	s_waitcnt vmcnt(0) lgkmcnt(0)
	s_barrier
	v_mul_f64 v[106:107], v[78:79], v[38:39]
	v_mul_f64 v[102:103], v[72:73], v[42:43]
	;; [unrolled: 1-line block ×12, first 2 shown]
	v_fma_f64 v[28:29], v[28:29], v[40:41], v[102:103]
	v_mul_f64 v[120:121], v[96:97], v[54:55]
	v_mul_f64 v[118:119], v[90:91], v[58:59]
	;; [unrolled: 1-line block ×4, first 2 shown]
	v_fma_f64 v[72:73], v[72:73], v[40:41], -v[104:105]
	v_fma_f64 v[14:15], v[14:15], v[36:37], v[106:107]
	v_mul_f64 v[122:123], v[76:77], v[62:63]
	v_mul_f64 v[62:63], v[12:13], v[62:63]
	;; [unrolled: 1-line block ×4, first 2 shown]
	v_fma_f64 v[78:79], v[78:79], v[36:37], -v[108:109]
	v_fma_f64 v[30:31], v[30:31], v[40:41], v[110:111]
	v_fma_f64 v[40:41], v[74:75], v[40:41], -v[42:43]
	v_fma_f64 v[24:25], v[24:25], v[36:37], v[112:113]
	;; [unrolled: 2-line block ×5, first 2 shown]
	v_fma_f64 v[44:45], v[90:91], v[56:57], -v[58:59]
	v_fma_f64 v[46:47], v[96:97], v[52:53], -v[54:55]
	v_fma_f64 v[12:13], v[12:13], v[60:61], v[122:123]
	v_fma_f64 v[48:49], v[76:77], v[60:61], -v[62:63]
	v_fma_f64 v[50:51], v[98:99], v[68:69], -v[70:71]
	v_add_f64 v[54:55], v[28:29], v[14:15]
	v_add_f64 v[56:57], v[72:73], -v[78:79]
	v_add_f64 v[58:59], v[2:3], v[72:73]
	v_add_f64 v[60:61], v[72:73], v[78:79]
	v_add_f64 v[70:71], v[40:41], -v[36:37]
	v_add_f64 v[72:73], v[80:81], v[40:41]
	v_add_f64 v[40:41], v[40:41], v[36:37]
	v_fma_f64 v[16:17], v[16:17], v[52:53], v[120:121]
	v_fma_f64 v[18:19], v[18:19], v[68:69], v[124:125]
	v_add_f64 v[52:53], v[0:1], v[28:29]
	v_add_f64 v[28:29], v[28:29], -v[14:15]
	v_add_f64 v[62:63], v[8:9], v[30:31]
	v_add_f64 v[68:69], v[30:31], v[24:25]
	v_add_f64 v[30:31], v[30:31], -v[24:25]
	v_add_f64 v[76:77], v[20:21], v[26:27]
	v_fma_f64 v[0:1], v[54:55], -0.5, v[0:1]
	v_fma_f64 v[2:3], v[60:61], -0.5, v[2:3]
	;; [unrolled: 1-line block ×3, first 2 shown]
	v_add_f64 v[74:75], v[10:11], v[20:21]
	v_add_f64 v[84:85], v[38:39], v[42:43]
	;; [unrolled: 1-line block ×4, first 2 shown]
	v_fma_f64 v[8:9], v[68:69], -0.5, v[8:9]
	v_add_f64 v[24:25], v[62:63], v[24:25]
	v_fma_f64 v[54:55], v[56:57], s[0:1], v[0:1]
	v_fma_f64 v[0:1], v[56:57], s[2:3], v[0:1]
	;; [unrolled: 1-line block ×4, first 2 shown]
	v_fma_f64 v[10:11], v[76:77], -0.5, v[10:11]
	v_add_f64 v[28:29], v[38:39], -v[42:43]
	v_fma_f64 v[60:61], v[30:31], s[2:3], v[40:41]
	v_add_f64 v[62:63], v[22:23], v[16:17]
	v_fma_f64 v[40:41], v[30:31], s[0:1], v[40:41]
	v_add_f64 v[30:31], v[82:83], v[38:39]
	v_fma_f64 v[2:3], v[70:71], s[0:1], v[8:9]
	v_fma_f64 v[8:9], v[70:71], s[2:3], v[8:9]
	v_fma_f64 v[38:39], v[84:85], -0.5, v[82:83]
	v_add_f64 v[20:21], v[20:21], -v[26:27]
	v_fma_f64 v[68:69], v[28:29], s[0:1], v[10:11]
	v_add_f64 v[70:71], v[4:5], v[22:23]
	v_fma_f64 v[4:5], v[62:63], -0.5, v[4:5]
	v_add_f64 v[62:63], v[44:45], -v[46:47]
	v_fma_f64 v[10:11], v[28:29], s[2:3], v[10:11]
	v_add_f64 v[42:43], v[30:31], v[42:43]
	v_add_f64 v[28:29], v[44:45], v[46:47]
	;; [unrolled: 1-line block ×4, first 2 shown]
	v_fma_f64 v[72:73], v[20:21], s[2:3], v[38:39]
	v_fma_f64 v[38:39], v[20:21], s[0:1], v[38:39]
	v_add_f64 v[20:21], v[70:71], v[16:17]
	v_fma_f64 v[70:71], v[62:63], s[0:1], v[4:5]
	v_fma_f64 v[4:5], v[62:63], s[2:3], v[4:5]
	v_add_f64 v[62:63], v[48:49], v[50:51]
	v_add_f64 v[44:45], v[92:93], v[44:45]
	v_fma_f64 v[28:29], v[28:29], -0.5, v[92:93]
	v_add_f64 v[16:17], v[22:23], -v[16:17]
	v_add_f64 v[22:23], v[6:7], v[12:13]
	v_fma_f64 v[6:7], v[30:31], -0.5, v[6:7]
	v_add_f64 v[30:31], v[48:49], -v[50:51]
	v_add_f64 v[26:27], v[74:75], v[26:27]
	v_add_f64 v[48:49], v[94:95], v[48:49]
	v_fma_f64 v[62:63], v[62:63], -0.5, v[94:95]
	v_add_f64 v[12:13], v[12:13], -v[18:19]
	v_add_f64 v[44:45], v[44:45], v[46:47]
	v_fma_f64 v[46:47], v[16:17], s[2:3], v[28:29]
	v_fma_f64 v[74:75], v[16:17], s[0:1], v[28:29]
	v_add_f64 v[16:17], v[22:23], v[18:19]
	v_fma_f64 v[18:19], v[30:31], s[0:1], v[6:7]
	v_fma_f64 v[6:7], v[30:31], s[2:3], v[6:7]
	ds_write2_b64 v141, v[14:15], v[54:55] offset1:34
	ds_write2_b64 v141, v[0:1], v[24:25] offset0:68 offset1:102
	ds_write2_b64 v141, v[2:3], v[8:9] offset0:136 offset1:170
	v_mov_b32_e32 v0, 3
	v_lshlrev_b32_sdwa v1, v0, v32 dst_sel:DWORD dst_unused:UNUSED_PAD src0_sel:DWORD src1_sel:BYTE_0
	v_add3_u32 v24, 0, v1, v151
	v_lshlrev_b32_sdwa v1, v0, v126 dst_sel:DWORD dst_unused:UNUSED_PAD src0_sel:DWORD src1_sel:BYTE_0
	v_lshlrev_b32_sdwa v0, v0, v127 dst_sel:DWORD dst_unused:UNUSED_PAD src0_sel:DWORD src1_sel:BYTE_0
	v_add3_u32 v25, 0, v1, v151
	v_add3_u32 v54, 0, v0, v151
	v_add_u32_e32 v32, 0x800, v25
	v_add_u32_e32 v55, 0x800, v54
	v_add_f64 v[48:49], v[48:49], v[50:51]
	v_fma_f64 v[50:51], v[12:13], s[2:3], v[62:63]
	v_fma_f64 v[62:63], v[12:13], s[0:1], v[62:63]
	ds_write2_b64 v24, v[26:27], v[68:69] offset0:204 offset1:238
	ds_write_b64 v24, v[10:11] offset:2176
	ds_write2_b64 v32, v[20:21], v[70:71] offset0:50 offset1:84
	ds_write_b64 v25, v[4:5] offset:2992
	;; [unrolled: 2-line block ×3, first 2 shown]
	s_waitcnt lgkmcnt(0)
	s_barrier
	ds_read_b64 v[30:31], v140
	ds_read2_b64 v[0:3], v141 offset0:102 offset1:136
	ds_read2_b64 v[8:11], v141 offset0:170 offset1:204
	;; [unrolled: 1-line block ×7, first 2 shown]
	s_waitcnt lgkmcnt(0)
	s_barrier
	ds_write2_b64 v141, v[52:53], v[56:57] offset1:34
	ds_write2_b64 v141, v[58:59], v[36:37] offset0:68 offset1:102
	ds_write2_b64 v141, v[60:61], v[40:41] offset0:136 offset1:170
	;; [unrolled: 1-line block ×3, first 2 shown]
	ds_write_b64 v24, v[38:39] offset:2176
	ds_write2_b64 v32, v[44:45], v[46:47] offset0:50 offset1:84
	ds_write_b64 v25, v[74:75] offset:2992
	ds_write2_b64 v55, v[48:49], v[50:51] offset0:152 offset1:186
	ds_write_b64 v54, v[62:63] offset:3808
	s_waitcnt lgkmcnt(0)
	s_barrier
	s_and_saveexec_b64 s[0:1], vcc
	s_cbranch_execz .LBB0_24
; %bb.23:
	v_lshlrev_b32_e32 v32, 2, v64
	v_lshlrev_b64 v[24:25], 4, v[32:33]
	v_mov_b32_e32 v62, s9
	v_add_co_u32_e32 v24, vcc, s8, v24
	v_addc_co_u32_e32 v25, vcc, v62, v25, vcc
	global_load_dwordx4 v[34:37], v[24:25], off offset:1408
	global_load_dwordx4 v[38:41], v[24:25], off offset:1392
	;; [unrolled: 1-line block ×4, first 2 shown]
	v_lshlrev_b32_e32 v32, 2, v65
	v_lshlrev_b64 v[24:25], 4, v[32:33]
	v_lshlrev_b32_e32 v32, 2, v150
	v_add_co_u32_e32 v24, vcc, s8, v24
	v_addc_co_u32_e32 v25, vcc, v62, v25, vcc
	global_load_dwordx4 v[50:53], v[24:25], off offset:1376
	global_load_dwordx4 v[54:57], v[24:25], off offset:1360
	;; [unrolled: 1-line block ×4, first 2 shown]
	v_add_u32_e32 v24, 0x400, v141
	v_add_u32_e32 v25, 0x800, v141
	ds_read2_b64 v[72:75], v141 offset0:170 offset1:204
	ds_read2_b64 v[76:79], v141 offset0:34 offset1:68
	;; [unrolled: 1-line block ×7, first 2 shown]
	v_lshlrev_b64 v[24:25], 4, v[32:33]
	s_mov_b32 s6, 0x134454ff
	v_add_co_u32_e32 v24, vcc, s8, v24
	v_addc_co_u32_e32 v25, vcc, v62, v25, vcc
	global_load_dwordx4 v[102:105], v[24:25], off offset:1408
	global_load_dwordx4 v[106:109], v[24:25], off offset:1392
	;; [unrolled: 1-line block ×4, first 2 shown]
	s_mov_b32 s7, 0x3fee6f0e
	s_mov_b32 s11, 0xbfee6f0e
	;; [unrolled: 1-line block ×9, first 2 shown]
	s_waitcnt vmcnt(11)
	v_mul_f64 v[118:119], v[28:29], v[36:37]
	s_waitcnt vmcnt(10)
	v_mul_f64 v[62:63], v[4:5], v[40:41]
	;; [unrolled: 2-line block ×4, first 2 shown]
	s_waitcnt lgkmcnt(3)
	v_mul_f64 v[44:45], v[86:87], v[44:45]
	s_waitcnt lgkmcnt(2)
	v_mul_f64 v[40:41], v[88:89], v[40:41]
	v_mul_f64 v[48:49], v[72:73], v[48:49]
	s_waitcnt lgkmcnt(1)
	v_mul_f64 v[36:37], v[94:95], v[36:37]
	s_waitcnt vmcnt(7)
	v_mul_f64 v[120:121], v[20:21], v[52:53]
	v_mul_f64 v[52:53], v[84:85], v[52:53]
	s_waitcnt vmcnt(5)
	v_mul_f64 v[124:125], v[14:15], v[60:61]
	s_waitcnt lgkmcnt(0)
	v_mul_f64 v[60:61], v[98:99], v[60:61]
	v_fma_f64 v[24:25], v[86:87], v[42:43], -v[24:25]
	v_fma_f64 v[32:33], v[72:73], v[46:47], -v[32:33]
	;; [unrolled: 1-line block ×4, first 2 shown]
	v_mul_f64 v[122:123], v[2:3], v[56:57]
	v_fma_f64 v[22:23], v[22:23], v[42:43], v[44:45]
	v_fma_f64 v[38:39], v[4:5], v[38:39], v[40:41]
	;; [unrolled: 1-line block ×4, first 2 shown]
	v_fma_f64 v[36:37], v[84:85], v[50:51], -v[120:121]
	v_fma_f64 v[42:43], v[98:99], v[58:59], -v[124:125]
	v_fma_f64 v[48:49], v[20:21], v[50:51], v[52:53]
	v_fma_f64 v[50:51], v[14:15], v[58:59], v[60:61]
	v_add_f64 v[14:15], v[24:25], -v[32:33]
	v_add_f64 v[20:21], v[62:63], -v[72:73]
	v_add_f64 v[34:35], v[32:33], v[72:73]
	v_add_f64 v[52:53], v[32:33], -v[24:25]
	v_add_f64 v[58:59], v[72:73], -v[62:63]
	v_add_f64 v[60:61], v[24:25], v[62:63]
	s_waitcnt vmcnt(4)
	v_mul_f64 v[126:127], v[26:27], v[70:71]
	v_mul_f64 v[56:57], v[82:83], v[56:57]
	v_fma_f64 v[40:41], v[82:83], v[54:55], -v[122:123]
	v_add_f64 v[28:29], v[22:23], -v[38:39]
	v_add_f64 v[46:47], v[4:5], -v[8:9]
	v_add_f64 v[82:83], v[32:33], v[78:79]
	v_add_f64 v[84:85], v[22:23], -v[4:5]
	v_add_f64 v[88:89], v[4:5], v[8:9]
	;; [unrolled: 2-line block ×3, first 2 shown]
	v_add_f64 v[4:5], v[18:19], v[4:5]
	v_add_f64 v[14:15], v[14:15], v[20:21]
	v_fma_f64 v[20:21], v[34:35], -0.5, v[78:79]
	v_add_f64 v[34:35], v[52:53], v[58:59]
	v_fma_f64 v[52:53], v[60:61], -0.5, v[78:79]
	v_mul_f64 v[70:71], v[92:93], v[70:71]
	v_fma_f64 v[44:45], v[92:93], v[68:69], -v[126:127]
	v_add_f64 v[86:87], v[38:39], -v[8:9]
	v_add_f64 v[32:33], v[32:33], -v[72:73]
	;; [unrolled: 1-line block ×3, first 2 shown]
	v_add_f64 v[24:25], v[24:25], v[82:83]
	v_fma_f64 v[60:61], v[88:89], -0.5, v[18:19]
	v_fma_f64 v[18:19], v[118:119], -0.5, v[18:19]
	v_add_f64 v[82:83], v[22:23], v[4:5]
	v_fma_f64 v[4:5], v[28:29], s[6:7], v[20:21]
	v_fma_f64 v[20:21], v[28:29], s[10:11], v[20:21]
	;; [unrolled: 1-line block ×4, first 2 shown]
	v_add_f64 v[98:99], v[8:9], -v[38:39]
	v_add_f64 v[120:121], v[40:41], v[44:45]
	v_add_f64 v[58:59], v[84:85], v[86:87]
	v_add_f64 v[24:25], v[62:63], v[24:25]
	v_fma_f64 v[62:63], v[92:93], s[10:11], v[60:61]
	v_fma_f64 v[60:61], v[92:93], s[6:7], v[60:61]
	;; [unrolled: 1-line block ×8, first 2 shown]
	v_add_f64 v[78:79], v[94:95], v[98:99]
	v_add_f64 v[28:29], v[72:73], v[24:25]
	v_fma_f64 v[62:63], v[32:33], s[4:5], v[62:63]
	v_fma_f64 v[32:33], v[32:33], s[2:3], v[60:61]
	;; [unrolled: 1-line block ×10, first 2 shown]
	v_add_f64 v[14:15], v[36:37], v[42:43]
	v_add_f64 v[46:47], v[48:49], -v[50:51]
	v_fma_f64 v[26:27], v[120:121], -0.5, v[76:77]
	v_add_f64 v[38:39], v[82:83], v[38:39]
	v_fma_f64 v[18:19], v[58:59], s[0:1], v[62:63]
	v_fma_f64 v[22:23], v[58:59], s[0:1], v[32:33]
	;; [unrolled: 1-line block ×4, first 2 shown]
	v_add_f64 v[56:57], v[36:37], -v[40:41]
	v_add_f64 v[58:59], v[52:53], -v[54:55]
	v_fma_f64 v[14:15], v[14:15], -0.5, v[76:77]
	v_add_f64 v[60:61], v[42:43], -v[44:45]
	v_fma_f64 v[62:63], v[46:47], s[6:7], v[26:27]
	v_fma_f64 v[68:69], v[46:47], s[10:11], v[26:27]
	v_add_f64 v[70:71], v[40:41], -v[36:37]
	v_add_f64 v[72:73], v[44:45], -v[42:43]
	v_add_f64 v[78:79], v[52:53], v[54:55]
	v_add_f64 v[26:27], v[38:39], v[8:9]
	;; [unrolled: 1-line block ×3, first 2 shown]
	v_fma_f64 v[8:9], v[58:59], s[10:11], v[14:15]
	v_add_f64 v[56:57], v[56:57], v[60:61]
	v_fma_f64 v[60:61], v[58:59], s[2:3], v[62:63]
	v_fma_f64 v[62:63], v[58:59], s[4:5], v[68:69]
	v_add_f64 v[68:69], v[70:71], v[72:73]
	v_fma_f64 v[70:71], v[78:79], -0.5, v[16:17]
	v_add_f64 v[72:73], v[36:37], -v[42:43]
	v_fma_f64 v[58:59], v[58:59], s[6:7], v[14:15]
	v_add_f64 v[36:37], v[36:37], v[38:39]
	v_add_f64 v[82:83], v[48:49], v[50:51]
	v_fma_f64 v[76:77], v[46:47], s[2:3], v[8:9]
	v_add_f64 v[78:79], v[48:49], -v[52:53]
	v_add_f64 v[84:85], v[50:51], -v[54:55]
	v_add_f64 v[40:41], v[40:41], -v[44:45]
	v_fma_f64 v[86:87], v[72:73], s[10:11], v[70:71]
	v_fma_f64 v[38:39], v[56:57], s[0:1], v[60:61]
	;; [unrolled: 1-line block ×4, first 2 shown]
	v_fma_f64 v[56:57], v[82:83], -0.5, v[16:17]
	v_add_f64 v[36:37], v[42:43], v[36:37]
	v_fma_f64 v[62:63], v[72:73], s[6:7], v[70:71]
	v_fma_f64 v[14:15], v[68:69], s[0:1], v[76:77]
	v_add_f64 v[58:59], v[78:79], v[84:85]
	v_fma_f64 v[60:61], v[40:41], s[4:5], v[86:87]
	v_add_f64 v[70:71], v[52:53], -v[48:49]
	v_add_f64 v[76:77], v[54:55], -v[50:51]
	v_fma_f64 v[42:43], v[68:69], s[0:1], v[46:47]
	v_fma_f64 v[68:69], v[40:41], s[6:7], v[56:57]
	v_add_f64 v[46:47], v[44:45], v[36:37]
	v_fma_f64 v[44:45], v[40:41], s[10:11], v[56:57]
	s_waitcnt vmcnt(0)
	v_mul_f64 v[56:57], v[0:1], v[116:117]
	v_fma_f64 v[40:41], v[40:41], s[2:3], v[62:63]
	v_mul_f64 v[62:63], v[6:7], v[104:105]
	v_fma_f64 v[36:37], v[58:59], s[0:1], v[60:61]
	v_add_f64 v[60:61], v[70:71], v[76:77]
	v_fma_f64 v[68:69], v[72:73], s[4:5], v[68:69]
	v_mul_f64 v[70:71], v[10:11], v[112:113]
	v_fma_f64 v[44:45], v[72:73], s[2:3], v[44:45]
	v_mul_f64 v[72:73], v[12:13], v[108:109]
	v_fma_f64 v[56:57], v[80:81], v[114:115], -v[56:57]
	v_mul_f64 v[76:77], v[74:75], v[112:113]
	v_mul_f64 v[78:79], v[96:97], v[108:109]
	v_fma_f64 v[82:83], v[90:91], v[102:103], -v[62:63]
	v_add_f64 v[16:17], v[16:17], v[52:53]
	v_fma_f64 v[52:53], v[74:75], v[110:111], -v[70:71]
	v_mul_f64 v[62:63], v[80:81], v[116:117]
	v_mul_f64 v[70:71], v[90:91], v[104:105]
	v_fma_f64 v[72:73], v[96:97], v[106:107], -v[72:73]
	v_fma_f64 v[10:11], v[10:11], v[110:111], v[76:77]
	v_fma_f64 v[74:75], v[12:13], v[106:107], v[78:79]
	v_add_f64 v[12:13], v[56:57], v[82:83]
	v_add_f64 v[16:17], v[48:49], v[16:17]
	ds_read_b64 v[48:49], v140
	v_fma_f64 v[0:1], v[0:1], v[114:115], v[62:63]
	v_fma_f64 v[76:77], v[6:7], v[102:103], v[70:71]
	v_add_f64 v[62:63], v[52:53], v[72:73]
	v_add_f64 v[70:71], v[52:53], -v[56:57]
	v_add_f64 v[78:79], v[10:11], -v[74:75]
	s_waitcnt lgkmcnt(0)
	v_fma_f64 v[80:81], v[12:13], -0.5, v[48:49]
	v_add_f64 v[84:85], v[72:73], -v[82:83]
	v_fma_f64 v[6:7], v[58:59], s[0:1], v[40:41]
	v_fma_f64 v[40:41], v[60:61], s[0:1], v[44:45]
	v_add_f64 v[58:59], v[0:1], -v[76:77]
	v_fma_f64 v[62:63], v[62:63], -0.5, v[48:49]
	v_add_f64 v[16:17], v[16:17], v[50:51]
	v_fma_f64 v[12:13], v[60:61], s[0:1], v[68:69]
	v_fma_f64 v[44:45], v[78:79], s[6:7], v[80:81]
	;; [unrolled: 1-line block ×3, first 2 shown]
	v_add_f64 v[60:61], v[70:71], v[84:85]
	v_add_f64 v[68:69], v[56:57], -v[52:53]
	v_add_f64 v[70:71], v[82:83], -v[72:73]
	v_fma_f64 v[80:81], v[58:59], s[10:11], v[62:63]
	v_fma_f64 v[62:63], v[58:59], s[6:7], v[62:63]
	v_add_f64 v[48:49], v[56:57], v[48:49]
	v_fma_f64 v[84:85], v[58:59], s[2:3], v[44:45]
	v_add_f64 v[44:45], v[16:17], v[54:55]
	;; [unrolled: 2-line block ×3, first 2 shown]
	v_add_f64 v[68:69], v[68:69], v[70:71]
	v_fma_f64 v[70:71], v[78:79], s[2:3], v[80:81]
	v_fma_f64 v[62:63], v[78:79], s[4:5], v[62:63]
	v_add_f64 v[78:79], v[10:11], v[74:75]
	v_add_f64 v[48:49], v[52:53], v[48:49]
	v_add_f64 v[52:53], v[52:53], -v[72:73]
	v_fma_f64 v[54:55], v[60:61], s[0:1], v[16:17]
	v_fma_f64 v[16:17], v[58:59], -0.5, v[30:31]
	v_fma_f64 v[50:51], v[60:61], s[0:1], v[84:85]
	v_add_f64 v[56:57], v[56:57], -v[82:83]
	v_fma_f64 v[58:59], v[68:69], s[0:1], v[70:71]
	v_fma_f64 v[60:61], v[78:79], -0.5, v[30:31]
	v_add_f64 v[30:31], v[30:31], v[0:1]
	v_fma_f64 v[62:63], v[68:69], s[0:1], v[62:63]
	v_add_f64 v[48:49], v[72:73], v[48:49]
	v_add_f64 v[68:69], v[10:11], -v[0:1]
	v_add_f64 v[72:73], v[74:75], -v[76:77]
	v_fma_f64 v[78:79], v[52:53], s[10:11], v[16:17]
	v_fma_f64 v[16:17], v[52:53], s[6:7], v[16:17]
	v_add_f64 v[0:1], v[0:1], -v[10:11]
	v_add_f64 v[10:11], v[10:11], v[30:31]
	v_fma_f64 v[84:85], v[56:57], s[6:7], v[60:61]
	v_fma_f64 v[60:61], v[56:57], s[10:11], v[60:61]
	v_add_f64 v[80:81], v[76:77], -v[74:75]
	v_add_f64 v[68:69], v[68:69], v[72:73]
	v_fma_f64 v[30:31], v[56:57], s[4:5], v[78:79]
	v_fma_f64 v[16:17], v[56:57], s[2:3], v[16:17]
	v_add_f64 v[70:71], v[82:83], v[48:49]
	v_add_f64 v[10:11], v[10:11], v[74:75]
	v_fma_f64 v[56:57], v[52:53], s[4:5], v[84:85]
	v_fma_f64 v[60:61], v[52:53], s[2:3], v[60:61]
	v_mad_u64_u32 v[72:73], s[2:3], s12, v150, 0
	v_add_f64 v[0:1], v[0:1], v[80:81]
	v_fma_f64 v[52:53], v[68:69], s[0:1], v[16:17]
	v_mov_b32_e32 v16, v73
	v_mad_u64_u32 v[16:17], s[2:3], s13, v150, v[16:17]
	v_fma_f64 v[48:49], v[68:69], s[0:1], v[30:31]
	v_add_f64 v[68:69], v[10:11], v[76:77]
	v_mov_b32_e32 v73, v16
	v_mov_b32_e32 v10, s15
	v_add_co_u32_e32 v74, vcc, s14, v100
	v_fma_f64 v[56:57], v[0:1], s[0:1], v[56:57]
	v_fma_f64 v[60:61], v[0:1], s[0:1], v[60:61]
	v_mad_u64_u32 v[0:1], s[0:1], s12, v67, 0
	v_addc_co_u32_e32 v75, vcc, v10, v101, vcc
	v_lshlrev_b64 v[10:11], 4, v[72:73]
	v_mad_u64_u32 v[16:17], s[0:1], s13, v67, v[1:2]
	v_add_co_u32_e32 v10, vcc, v74, v10
	v_addc_co_u32_e32 v11, vcc, v75, v11, vcc
	global_store_dwordx4 v[10:11], v[68:71], off
	v_mad_u64_u32 v[10:11], s[0:1], s12, v66, 0
	v_mov_b32_e32 v1, v16
	v_lshlrev_b64 v[0:1], 4, v[0:1]
	v_mad_u64_u32 v[16:17], s[0:1], s13, v66, v[11:12]
	v_add_u32_e32 v17, 0x132, v150
	v_mad_u64_u32 v[30:31], s[0:1], s12, v17, 0
	v_add_co_u32_e32 v0, vcc, v74, v0
	v_addc_co_u32_e32 v1, vcc, v75, v1, vcc
	v_mov_b32_e32 v11, v16
	global_store_dwordx4 v[0:1], v[60:63], off
	v_lshlrev_b64 v[0:1], 4, v[10:11]
	v_mov_b32_e32 v10, v31
	v_mad_u64_u32 v[10:11], s[0:1], s13, v17, v[10:11]
	v_add_co_u32_e32 v0, vcc, v74, v0
	v_addc_co_u32_e32 v1, vcc, v75, v1, vcc
	v_mov_b32_e32 v31, v10
	v_add_u32_e32 v16, 0x198, v150
	global_store_dwordx4 v[0:1], v[52:55], off
	v_lshlrev_b64 v[0:1], 4, v[30:31]
	v_mad_u64_u32 v[10:11], s[0:1], s12, v16, 0
	v_add_co_u32_e32 v0, vcc, v74, v0
	v_addc_co_u32_e32 v1, vcc, v75, v1, vcc
	global_store_dwordx4 v[0:1], v[48:51], off
	v_mov_b32_e32 v0, v11
	v_mad_u64_u32 v[0:1], s[0:1], s13, v16, v[0:1]
	s_mov_b32 s2, 0xa0a0a0a1
	v_mul_hi_u32 v16, v65, s2
	v_mov_b32_e32 v11, v0
	s_movk_i32 s3, 0x198
	v_lshlrev_b64 v[0:1], 4, v[10:11]
	v_lshrrev_b32_e32 v10, 6, v16
	v_mad_u32_u24 v48, v10, s3, v65
	v_mad_u64_u32 v[10:11], s[0:1], s12, v48, 0
	v_add_co_u32_e32 v0, vcc, v74, v0
	v_mad_u64_u32 v[16:17], s[0:1], s13, v48, v[11:12]
	v_add_u32_e32 v17, 0x66, v48
	v_mad_u64_u32 v[30:31], s[0:1], s12, v17, 0
	v_addc_co_u32_e32 v1, vcc, v75, v1, vcc
	v_mov_b32_e32 v11, v16
	global_store_dwordx4 v[0:1], v[56:59], off
	v_lshlrev_b64 v[0:1], 4, v[10:11]
	v_mov_b32_e32 v10, v31
	v_mad_u64_u32 v[10:11], s[0:1], s13, v17, v[10:11]
	v_add_u32_e32 v16, 0xcc, v48
	v_add_co_u32_e32 v0, vcc, v74, v0
	v_mov_b32_e32 v31, v10
	v_mad_u64_u32 v[10:11], s[0:1], s12, v16, 0
	v_addc_co_u32_e32 v1, vcc, v75, v1, vcc
	v_mad_u64_u32 v[16:17], s[0:1], s13, v16, v[11:12]
	global_store_dwordx4 v[0:1], v[44:47], off
	v_lshlrev_b64 v[0:1], 4, v[30:31]
	v_mov_b32_e32 v11, v16
	v_add_co_u32_e32 v0, vcc, v74, v0
	v_addc_co_u32_e32 v1, vcc, v75, v1, vcc
	global_store_dwordx4 v[0:1], v[40:43], off
	v_lshlrev_b64 v[0:1], 4, v[10:11]
	v_add_u32_e32 v17, 0x132, v48
	v_mad_u64_u32 v[30:31], s[0:1], s12, v17, 0
	v_add_co_u32_e32 v0, vcc, v74, v0
	v_addc_co_u32_e32 v1, vcc, v75, v1, vcc
	global_store_dwordx4 v[0:1], v[6:9], off
	v_mov_b32_e32 v10, v31
	v_add_u32_e32 v8, 0x198, v48
	v_mad_u64_u32 v[6:7], s[0:1], s12, v8, 0
	v_mul_hi_u32 v9, v64, s2
	v_mad_u64_u32 v[10:11], s[0:1], s13, v17, v[10:11]
	v_mad_u64_u32 v[7:8], s[0:1], s13, v8, v[7:8]
	v_lshrrev_b32_e32 v8, 6, v9
	v_mov_b32_e32 v31, v10
	v_mad_u32_u24 v10, v8, s3, v64
	v_lshlrev_b64 v[0:1], 4, v[30:31]
	v_mad_u64_u32 v[8:9], s[0:1], s12, v10, 0
	v_add_co_u32_e32 v0, vcc, v74, v0
	v_addc_co_u32_e32 v1, vcc, v75, v1, vcc
	global_store_dwordx4 v[0:1], v[36:39], off
	v_lshlrev_b64 v[0:1], 4, v[6:7]
	v_mov_b32_e32 v6, v9
	v_mad_u64_u32 v[6:7], s[0:1], s13, v10, v[6:7]
	v_add_co_u32_e32 v0, vcc, v74, v0
	v_addc_co_u32_e32 v1, vcc, v75, v1, vcc
	v_mov_b32_e32 v9, v6
	global_store_dwordx4 v[0:1], v[12:15], off
	v_lshlrev_b64 v[0:1], 4, v[8:9]
	v_add_u32_e32 v8, 0x66, v10
	v_mad_u64_u32 v[6:7], s[0:1], s12, v8, 0
	v_add_u32_e32 v11, 0xcc, v10
	v_add_co_u32_e32 v0, vcc, v74, v0
	v_mad_u64_u32 v[7:8], s[0:1], s13, v8, v[7:8]
	v_mad_u64_u32 v[8:9], s[0:1], s12, v11, 0
	v_addc_co_u32_e32 v1, vcc, v75, v1, vcc
	global_store_dwordx4 v[0:1], v[26:29], off
	v_lshlrev_b64 v[0:1], 4, v[6:7]
	v_mov_b32_e32 v6, v9
	v_mad_u64_u32 v[6:7], s[0:1], s13, v11, v[6:7]
	v_add_co_u32_e32 v0, vcc, v74, v0
	v_addc_co_u32_e32 v1, vcc, v75, v1, vcc
	v_mov_b32_e32 v9, v6
	global_store_dwordx4 v[0:1], v[32:35], off
	v_lshlrev_b64 v[0:1], 4, v[8:9]
	v_add_u32_e32 v8, 0x132, v10
	v_mad_u64_u32 v[6:7], s[0:1], s12, v8, 0
	v_add_u32_e32 v10, 0x198, v10
	v_add_co_u32_e32 v0, vcc, v74, v0
	v_mad_u64_u32 v[7:8], s[0:1], s13, v8, v[7:8]
	v_mad_u64_u32 v[8:9], s[0:1], s12, v10, 0
	v_addc_co_u32_e32 v1, vcc, v75, v1, vcc
	global_store_dwordx4 v[0:1], v[22:25], off
	v_lshlrev_b64 v[0:1], 4, v[6:7]
	v_mov_b32_e32 v6, v9
	v_mad_u64_u32 v[6:7], s[0:1], s13, v10, v[6:7]
	v_add_co_u32_e32 v0, vcc, v74, v0
	v_addc_co_u32_e32 v1, vcc, v75, v1, vcc
	v_mov_b32_e32 v9, v6
	global_store_dwordx4 v[0:1], v[18:21], off
	v_lshlrev_b64 v[0:1], 4, v[8:9]
	v_add_co_u32_e32 v0, vcc, v74, v0
	v_addc_co_u32_e32 v1, vcc, v75, v1, vcc
	global_store_dwordx4 v[0:1], v[2:5], off
.LBB0_24:
	s_endpgm
	.section	.rodata,"a",@progbits
	.p2align	6, 0x0
	.amdhsa_kernel fft_rtc_back_len510_factors_17_2_3_5_wgs_238_tpt_34_halfLds_dp_ip_CI_sbrr_dirReg
		.amdhsa_group_segment_fixed_size 0
		.amdhsa_private_segment_fixed_size 0
		.amdhsa_kernarg_size 88
		.amdhsa_user_sgpr_count 6
		.amdhsa_user_sgpr_private_segment_buffer 1
		.amdhsa_user_sgpr_dispatch_ptr 0
		.amdhsa_user_sgpr_queue_ptr 0
		.amdhsa_user_sgpr_kernarg_segment_ptr 1
		.amdhsa_user_sgpr_dispatch_id 0
		.amdhsa_user_sgpr_flat_scratch_init 0
		.amdhsa_user_sgpr_private_segment_size 0
		.amdhsa_uses_dynamic_stack 0
		.amdhsa_system_sgpr_private_segment_wavefront_offset 0
		.amdhsa_system_sgpr_workgroup_id_x 1
		.amdhsa_system_sgpr_workgroup_id_y 0
		.amdhsa_system_sgpr_workgroup_id_z 0
		.amdhsa_system_sgpr_workgroup_info 0
		.amdhsa_system_vgpr_workitem_id 0
		.amdhsa_next_free_vgpr 222
		.amdhsa_next_free_sgpr 60
		.amdhsa_reserve_vcc 1
		.amdhsa_reserve_flat_scratch 0
		.amdhsa_float_round_mode_32 0
		.amdhsa_float_round_mode_16_64 0
		.amdhsa_float_denorm_mode_32 3
		.amdhsa_float_denorm_mode_16_64 3
		.amdhsa_dx10_clamp 1
		.amdhsa_ieee_mode 1
		.amdhsa_fp16_overflow 0
		.amdhsa_exception_fp_ieee_invalid_op 0
		.amdhsa_exception_fp_denorm_src 0
		.amdhsa_exception_fp_ieee_div_zero 0
		.amdhsa_exception_fp_ieee_overflow 0
		.amdhsa_exception_fp_ieee_underflow 0
		.amdhsa_exception_fp_ieee_inexact 0
		.amdhsa_exception_int_div_zero 0
	.end_amdhsa_kernel
	.text
.Lfunc_end0:
	.size	fft_rtc_back_len510_factors_17_2_3_5_wgs_238_tpt_34_halfLds_dp_ip_CI_sbrr_dirReg, .Lfunc_end0-fft_rtc_back_len510_factors_17_2_3_5_wgs_238_tpt_34_halfLds_dp_ip_CI_sbrr_dirReg
                                        ; -- End function
	.section	.AMDGPU.csdata,"",@progbits
; Kernel info:
; codeLenInByte = 15060
; NumSgprs: 64
; NumVgprs: 222
; ScratchSize: 0
; MemoryBound: 1
; FloatMode: 240
; IeeeMode: 1
; LDSByteSize: 0 bytes/workgroup (compile time only)
; SGPRBlocks: 7
; VGPRBlocks: 55
; NumSGPRsForWavesPerEU: 64
; NumVGPRsForWavesPerEU: 222
; Occupancy: 1
; WaveLimiterHint : 1
; COMPUTE_PGM_RSRC2:SCRATCH_EN: 0
; COMPUTE_PGM_RSRC2:USER_SGPR: 6
; COMPUTE_PGM_RSRC2:TRAP_HANDLER: 0
; COMPUTE_PGM_RSRC2:TGID_X_EN: 1
; COMPUTE_PGM_RSRC2:TGID_Y_EN: 0
; COMPUTE_PGM_RSRC2:TGID_Z_EN: 0
; COMPUTE_PGM_RSRC2:TIDIG_COMP_CNT: 0
	.type	__hip_cuid_14f6d0b53ac700b7,@object ; @__hip_cuid_14f6d0b53ac700b7
	.section	.bss,"aw",@nobits
	.globl	__hip_cuid_14f6d0b53ac700b7
__hip_cuid_14f6d0b53ac700b7:
	.byte	0                               ; 0x0
	.size	__hip_cuid_14f6d0b53ac700b7, 1

	.ident	"AMD clang version 19.0.0git (https://github.com/RadeonOpenCompute/llvm-project roc-6.4.0 25133 c7fe45cf4b819c5991fe208aaa96edf142730f1d)"
	.section	".note.GNU-stack","",@progbits
	.addrsig
	.addrsig_sym __hip_cuid_14f6d0b53ac700b7
	.amdgpu_metadata
---
amdhsa.kernels:
  - .args:
      - .actual_access:  read_only
        .address_space:  global
        .offset:         0
        .size:           8
        .value_kind:     global_buffer
      - .offset:         8
        .size:           8
        .value_kind:     by_value
      - .actual_access:  read_only
        .address_space:  global
        .offset:         16
        .size:           8
        .value_kind:     global_buffer
      - .actual_access:  read_only
        .address_space:  global
        .offset:         24
        .size:           8
        .value_kind:     global_buffer
      - .offset:         32
        .size:           8
        .value_kind:     by_value
      - .actual_access:  read_only
        .address_space:  global
        .offset:         40
        .size:           8
        .value_kind:     global_buffer
      - .actual_access:  read_only
        .address_space:  global
        .offset:         48
        .size:           8
        .value_kind:     global_buffer
      - .offset:         56
        .size:           4
        .value_kind:     by_value
      - .actual_access:  read_only
        .address_space:  global
        .offset:         64
        .size:           8
        .value_kind:     global_buffer
      - .actual_access:  read_only
        .address_space:  global
        .offset:         72
        .size:           8
        .value_kind:     global_buffer
      - .address_space:  global
        .offset:         80
        .size:           8
        .value_kind:     global_buffer
    .group_segment_fixed_size: 0
    .kernarg_segment_align: 8
    .kernarg_segment_size: 88
    .language:       OpenCL C
    .language_version:
      - 2
      - 0
    .max_flat_workgroup_size: 238
    .name:           fft_rtc_back_len510_factors_17_2_3_5_wgs_238_tpt_34_halfLds_dp_ip_CI_sbrr_dirReg
    .private_segment_fixed_size: 0
    .sgpr_count:     64
    .sgpr_spill_count: 0
    .symbol:         fft_rtc_back_len510_factors_17_2_3_5_wgs_238_tpt_34_halfLds_dp_ip_CI_sbrr_dirReg.kd
    .uniform_work_group_size: 1
    .uses_dynamic_stack: false
    .vgpr_count:     222
    .vgpr_spill_count: 0
    .wavefront_size: 64
amdhsa.target:   amdgcn-amd-amdhsa--gfx906
amdhsa.version:
  - 1
  - 2
...

	.end_amdgpu_metadata
